;; amdgpu-corpus repo=ROCm/rocFFT kind=compiled arch=gfx950 opt=O3
	.text
	.amdgcn_target "amdgcn-amd-amdhsa--gfx950"
	.amdhsa_code_object_version 6
	.protected	fft_rtc_fwd_len578_factors_17_17_2_wgs_238_tpt_34_halfLds_sp_ip_CI_unitstride_sbrr_dirReg ; -- Begin function fft_rtc_fwd_len578_factors_17_17_2_wgs_238_tpt_34_halfLds_sp_ip_CI_unitstride_sbrr_dirReg
	.globl	fft_rtc_fwd_len578_factors_17_17_2_wgs_238_tpt_34_halfLds_sp_ip_CI_unitstride_sbrr_dirReg
	.p2align	8
	.type	fft_rtc_fwd_len578_factors_17_17_2_wgs_238_tpt_34_halfLds_sp_ip_CI_unitstride_sbrr_dirReg,@function
fft_rtc_fwd_len578_factors_17_17_2_wgs_238_tpt_34_halfLds_sp_ip_CI_unitstride_sbrr_dirReg: ; @fft_rtc_fwd_len578_factors_17_17_2_wgs_238_tpt_34_halfLds_sp_ip_CI_unitstride_sbrr_dirReg
; %bb.0:
	s_load_dwordx2 s[4:5], s[0:1], 0x50
	s_load_dwordx4 s[20:23], s[0:1], 0x0
	s_load_dwordx2 s[6:7], s[0:1], 0x18
	v_mul_u32_u24_e32 v1, 0x788, v0
	v_lshrrev_b32_e32 v2, 16, v1
	v_mad_u64_u32 v[2:3], s[2:3], s2, 7, v[2:3]
	v_mov_b32_e32 v6, 0
	v_mov_b32_e32 v3, v6
	s_waitcnt lgkmcnt(0)
	v_cmp_lt_u64_e64 s[2:3], s[22:23], 2
	s_and_b64 vcc, exec, s[2:3]
	v_mov_b64_e32 v[4:5], 0
	v_mov_b64_e32 v[10:11], v[2:3]
	s_cbranch_vccnz .LBB0_8
; %bb.1:
	s_load_dwordx2 s[2:3], s[0:1], 0x10
	s_add_u32 s8, s6, 8
	s_addc_u32 s9, s7, 0
	s_mov_b64 s[10:11], 1
	v_mov_b64_e32 v[4:5], 0
	s_waitcnt lgkmcnt(0)
	s_add_u32 s12, s2, 8
	s_addc_u32 s13, s3, 0
	v_mov_b64_e32 v[8:9], v[2:3]
.LBB0_2:                                ; =>This Inner Loop Header: Depth=1
	s_load_dwordx2 s[14:15], s[12:13], 0x0
                                        ; implicit-def: $vgpr10_vgpr11
	s_waitcnt lgkmcnt(0)
	v_or_b32_e32 v7, s15, v9
	v_cmp_ne_u64_e32 vcc, 0, v[6:7]
	s_and_saveexec_b64 s[2:3], vcc
	s_xor_b64 s[16:17], exec, s[2:3]
	s_cbranch_execz .LBB0_4
; %bb.3:                                ;   in Loop: Header=BB0_2 Depth=1
	v_cvt_f32_u32_e32 v1, s14
	v_cvt_f32_u32_e32 v3, s15
	s_sub_u32 s2, 0, s14
	s_subb_u32 s3, 0, s15
	v_fmac_f32_e32 v1, 0x4f800000, v3
	v_rcp_f32_e32 v1, v1
	s_nop 0
	v_mul_f32_e32 v1, 0x5f7ffffc, v1
	v_mul_f32_e32 v3, 0x2f800000, v1
	v_trunc_f32_e32 v3, v3
	v_fmac_f32_e32 v1, 0xcf800000, v3
	v_cvt_u32_f32_e32 v3, v3
	v_cvt_u32_f32_e32 v1, v1
	v_mul_lo_u32 v7, s2, v3
	v_mul_hi_u32 v10, s2, v1
	v_mul_lo_u32 v11, s3, v1
	v_add_u32_e32 v7, v10, v7
	v_mul_lo_u32 v14, s2, v1
	v_add_u32_e32 v7, v7, v11
	v_mul_hi_u32 v10, v1, v14
	v_mul_hi_u32 v13, v1, v7
	v_mul_lo_u32 v12, v1, v7
	v_mov_b32_e32 v11, v6
	v_lshl_add_u64 v[10:11], v[10:11], 0, v[12:13]
	v_mul_hi_u32 v13, v3, v14
	v_mul_lo_u32 v14, v3, v14
	v_add_co_u32_e32 v10, vcc, v10, v14
	v_mul_hi_u32 v12, v3, v7
	s_nop 0
	v_addc_co_u32_e32 v10, vcc, v11, v13, vcc
	v_mov_b32_e32 v11, v6
	s_nop 0
	v_addc_co_u32_e32 v13, vcc, 0, v12, vcc
	v_mul_lo_u32 v12, v3, v7
	v_lshl_add_u64 v[10:11], v[10:11], 0, v[12:13]
	v_add_co_u32_e32 v1, vcc, v1, v10
	v_mul_hi_u32 v10, s2, v1
	s_nop 0
	v_addc_co_u32_e32 v3, vcc, v3, v11, vcc
	v_mul_lo_u32 v7, s2, v3
	v_add_u32_e32 v7, v10, v7
	v_mul_lo_u32 v10, s3, v1
	v_add_u32_e32 v7, v7, v10
	v_mul_lo_u32 v12, s2, v1
	v_mul_hi_u32 v15, v3, v12
	v_mul_lo_u32 v16, v3, v12
	v_mul_hi_u32 v11, v1, v7
	;; [unrolled: 2-line block ×3, first 2 shown]
	v_mov_b32_e32 v13, v6
	v_lshl_add_u64 v[10:11], v[12:13], 0, v[10:11]
	v_add_co_u32_e32 v10, vcc, v10, v16
	v_mul_hi_u32 v14, v3, v7
	s_nop 0
	v_addc_co_u32_e32 v10, vcc, v11, v15, vcc
	v_mul_lo_u32 v12, v3, v7
	s_nop 0
	v_addc_co_u32_e32 v13, vcc, 0, v14, vcc
	v_mov_b32_e32 v11, v6
	v_lshl_add_u64 v[10:11], v[10:11], 0, v[12:13]
	v_add_co_u32_e32 v1, vcc, v1, v10
	v_mul_hi_u32 v12, v8, v1
	s_nop 0
	v_addc_co_u32_e32 v3, vcc, v3, v11, vcc
	v_mad_u64_u32 v[10:11], s[2:3], v8, v3, 0
	v_mov_b32_e32 v13, v6
	v_lshl_add_u64 v[10:11], v[12:13], 0, v[10:11]
	v_mad_u64_u32 v[14:15], s[2:3], v9, v1, 0
	v_add_co_u32_e32 v1, vcc, v10, v14
	v_mad_u64_u32 v[12:13], s[2:3], v9, v3, 0
	s_nop 0
	v_addc_co_u32_e32 v10, vcc, v11, v15, vcc
	v_mov_b32_e32 v11, v6
	s_nop 0
	v_addc_co_u32_e32 v13, vcc, 0, v13, vcc
	v_lshl_add_u64 v[10:11], v[10:11], 0, v[12:13]
	v_mul_lo_u32 v1, s15, v10
	v_mul_lo_u32 v3, s14, v11
	v_mad_u64_u32 v[12:13], s[2:3], s14, v10, 0
	v_add3_u32 v1, v13, v3, v1
	v_sub_u32_e32 v3, v9, v1
	v_mov_b32_e32 v7, s15
	v_sub_co_u32_e32 v16, vcc, v8, v12
	v_lshl_add_u64 v[14:15], v[10:11], 0, 1
	s_nop 0
	v_subb_co_u32_e64 v3, s[2:3], v3, v7, vcc
	v_subrev_co_u32_e64 v7, s[2:3], s14, v16
	v_subb_co_u32_e32 v1, vcc, v9, v1, vcc
	s_nop 0
	v_subbrev_co_u32_e64 v3, s[2:3], 0, v3, s[2:3]
	v_cmp_le_u32_e64 s[2:3], s15, v3
	v_cmp_le_u32_e32 vcc, s15, v1
	s_nop 0
	v_cndmask_b32_e64 v12, 0, -1, s[2:3]
	v_cmp_le_u32_e64 s[2:3], s14, v7
	s_nop 1
	v_cndmask_b32_e64 v7, 0, -1, s[2:3]
	v_cmp_eq_u32_e64 s[2:3], s15, v3
	s_nop 1
	v_cndmask_b32_e64 v3, v12, v7, s[2:3]
	v_lshl_add_u64 v[12:13], v[10:11], 0, 2
	v_cmp_ne_u32_e64 s[2:3], 0, v3
	v_cndmask_b32_e64 v7, 0, -1, vcc
	v_cmp_le_u32_e32 vcc, s14, v16
	v_cndmask_b32_e64 v3, v15, v13, s[2:3]
	s_nop 0
	v_cndmask_b32_e64 v13, 0, -1, vcc
	v_cmp_eq_u32_e32 vcc, s15, v1
	s_nop 1
	v_cndmask_b32_e32 v1, v7, v13, vcc
	v_cmp_ne_u32_e32 vcc, 0, v1
	v_cndmask_b32_e64 v1, v14, v12, s[2:3]
	s_nop 0
	v_cndmask_b32_e32 v11, v11, v3, vcc
	v_cndmask_b32_e32 v10, v10, v1, vcc
.LBB0_4:                                ;   in Loop: Header=BB0_2 Depth=1
	s_andn2_saveexec_b64 s[2:3], s[16:17]
	s_cbranch_execz .LBB0_6
; %bb.5:                                ;   in Loop: Header=BB0_2 Depth=1
	v_cvt_f32_u32_e32 v1, s14
	s_sub_i32 s16, 0, s14
	v_mov_b32_e32 v11, v6
	v_rcp_iflag_f32_e32 v1, v1
	s_nop 0
	v_mul_f32_e32 v1, 0x4f7ffffe, v1
	v_cvt_u32_f32_e32 v1, v1
	v_mul_lo_u32 v3, s16, v1
	v_mul_hi_u32 v3, v1, v3
	v_add_u32_e32 v1, v1, v3
	v_mul_hi_u32 v1, v8, v1
	v_mul_lo_u32 v3, v1, s14
	v_sub_u32_e32 v3, v8, v3
	v_add_u32_e32 v7, 1, v1
	v_subrev_u32_e32 v10, s14, v3
	v_cmp_le_u32_e32 vcc, s14, v3
	s_nop 1
	v_cndmask_b32_e32 v3, v3, v10, vcc
	v_cndmask_b32_e32 v1, v1, v7, vcc
	v_add_u32_e32 v7, 1, v1
	v_cmp_le_u32_e32 vcc, s14, v3
	s_nop 1
	v_cndmask_b32_e32 v10, v1, v7, vcc
.LBB0_6:                                ;   in Loop: Header=BB0_2 Depth=1
	s_or_b64 exec, exec, s[2:3]
	v_mad_u64_u32 v[12:13], s[2:3], v10, s14, 0
	s_load_dwordx2 s[2:3], s[8:9], 0x0
	s_add_u32 s10, s10, 1
	v_mul_lo_u32 v1, v11, s14
	v_mul_lo_u32 v3, v10, s15
	s_addc_u32 s11, s11, 0
	v_add3_u32 v1, v13, v3, v1
	v_sub_co_u32_e32 v3, vcc, v8, v12
	s_add_u32 s8, s8, 8
	s_nop 0
	v_subb_co_u32_e32 v1, vcc, v9, v1, vcc
	s_addc_u32 s9, s9, 0
	v_mov_b64_e32 v[8:9], s[22:23]
	s_waitcnt lgkmcnt(0)
	v_mul_lo_u32 v1, s2, v1
	v_mul_lo_u32 v7, s3, v3
	v_mad_u64_u32 v[4:5], s[2:3], s2, v3, v[4:5]
	s_add_u32 s12, s12, 8
	v_cmp_ge_u64_e32 vcc, s[10:11], v[8:9]
	v_add3_u32 v5, v7, v5, v1
	s_addc_u32 s13, s13, 0
	s_cbranch_vccnz .LBB0_8
; %bb.7:                                ;   in Loop: Header=BB0_2 Depth=1
	v_mov_b64_e32 v[8:9], v[10:11]
	s_branch .LBB0_2
.LBB0_8:
                                        ; implicit-def: $vgpr184 : SGPR spill to VGPR lane
                                        ; implicit-def: $vgpr74
                                        ; implicit-def: $vgpr6
                                        ; implicit-def: $vgpr8
                                        ; implicit-def: $vgpr80
                                        ; implicit-def: $vgpr78
                                        ; implicit-def: $vgpr76
                                        ; implicit-def: $vgpr70
                                        ; implicit-def: $vgpr66
                                        ; implicit-def: $vgpr60
                                        ; implicit-def: $vgpr64
                                        ; implicit-def: $vgpr62
                                        ; implicit-def: $vgpr68
                                        ; implicit-def: $vgpr72
                                        ; implicit-def: $vgpr82
	v_writelane_b32 v184, s20, 0
	s_lshl_b64 s[2:3], s[22:23], 3
	s_add_u32 s2, s6, s2
	s_addc_u32 s3, s7, s3
	s_load_dwordx2 s[6:7], s[2:3], 0x0
	s_load_dwordx2 s[8:9], s[0:1], 0x20
	v_writelane_b32 v184, s21, 1
	v_writelane_b32 v184, s22, 2
	;; [unrolled: 1-line block ×3, first 2 shown]
	s_waitcnt lgkmcnt(0)
	v_mad_u64_u32 v[4:5], s[0:1], s6, v10, v[4:5]
	v_mul_lo_u32 v1, s6, v11
	v_mul_lo_u32 v3, s7, v10
	s_mov_b32 s0, 0x7878788
	v_add3_u32 v5, v3, v5, v1
	v_mul_hi_u32 v1, v0, s0
	v_mul_u32_u24_e32 v1, 34, v1
	v_cmp_gt_u64_e32 vcc, s[8:9], v[10:11]
	v_sub_u32_e32 v24, v0, v1
	v_mov_b64_e32 v[0:1], 0
	v_lshl_add_u64 v[26:27], v[4:5], 3, s[4:5]
                                        ; implicit-def: $vgpr4
                                        ; implicit-def: $vgpr10
	s_and_saveexec_b64 s[2:3], vcc
	s_cbranch_execz .LBB0_10
; %bb.9:
	v_mov_b32_e32 v25, 0
	v_lshl_add_u64 v[12:13], v[24:25], 3, v[26:27]
	global_load_dwordx2 v[0:1], v[12:13], off
	global_load_dwordx2 v[74:75], v[12:13], off offset:272
	global_load_dwordx2 v[4:5], v[12:13], off offset:544
	;; [unrolled: 1-line block ×15, first 2 shown]
	s_movk_i32 s0, 0x1000
	v_add_co_u32_e64 v12, s[0:1], s0, v12
	s_nop 1
	v_addc_co_u32_e64 v13, s[0:1], 0, v13, s[0:1]
	global_load_dwordx2 v[64:65], v[12:13], off offset:256
.LBB0_10:
	s_or_b64 exec, exec, s[2:3]
	s_mov_b32 s0, 0x24924925
	v_mul_hi_u32 v3, v2, s0
	v_sub_u32_e32 v12, v2, v3
	v_lshrrev_b32_e32 v12, 1, v12
	v_add_u32_e32 v3, v12, v3
	v_lshrrev_b32_e32 v3, 2, v3
	v_mul_lo_u32 v3, v3, 7
	v_sub_u32_e32 v2, v2, v3
	v_mul_u32_u24_e32 v29, 0x242, v2
	s_waitcnt vmcnt(15)
	v_add_f32_e32 v2, v74, v0
	v_add_f32_e32 v3, v75, v1
	s_waitcnt vmcnt(14)
	v_add_f32_e32 v2, v4, v2
	v_add_f32_e32 v3, v5, v3
	;; [unrolled: 3-line block ×5, first 2 shown]
	s_waitcnt vmcnt(1)
	v_pk_add_f32 v[2:3], v[4:5], v[62:63]
	v_pk_add_f32 v[16:17], v[4:5], v[62:63] neg_lo:[0,1] neg_hi:[0,1]
	s_mov_b32 s30, 0x3f3d2fb0
	v_mov_b32_e32 v4, v2
	v_mov_b32_e32 v5, v17
	s_mov_b32 s31, 0xbf2c7751
	v_pk_mul_f32 v[12:13], v[4:5], s[30:31]
	s_mov_b32 s34, 0x3ee437d1
	v_mov_b32_e32 v15, v12
	v_pk_fma_f32 v[116:117], v[4:5], s[30:31], v[14:15] neg_lo:[1,0,0] neg_hi:[1,0,0]
	v_mov_b32_e32 v4, v3
	v_mov_b32_e32 v5, v16
	v_pk_mul_f32 v[14:15], v[4:5], s[30:31]
	s_mov_b32 s35, 0xbf65296c
	v_mov_b32_e32 v21, v14
	v_pk_fma_f32 v[84:85], v[4:5], s[30:31], v[20:21]
	v_pk_add_f32 v[4:5], v[6:7], v[60:61]
	v_pk_add_f32 v[20:21], v[6:7], v[60:61] neg_lo:[0,1] neg_hi:[0,1]
	v_mov_b32_e32 v6, v4
	v_mov_b32_e32 v7, v21
	v_add_f32_e32 v31, v13, v12
	v_pk_mul_f32 v[12:13], v[6:7], s[34:35]
	v_sub_f32_e32 v145, v14, v15
	v_mov_b32_e32 v15, v12
	v_pk_fma_f32 v[118:119], v[6:7], s[34:35], v[14:15] neg_lo:[1,0,0] neg_hi:[1,0,0]
	v_mov_b32_e32 v6, v5
	v_mov_b32_e32 v7, v20
	v_pk_mul_f32 v[14:15], v[6:7], s[34:35]
	s_mov_b32 s14, 0x3dbcf732
	v_mov_b32_e32 v23, v14
	v_pk_fma_f32 v[90:91], v[6:7], s[34:35], v[22:23]
	v_pk_add_f32 v[6:7], v[8:9], v[68:69]
	v_pk_add_f32 v[22:23], v[8:9], v[68:69] neg_lo:[0,1] neg_hi:[0,1]
	v_mov_b32_e32 v8, v6
	v_mov_b32_e32 v9, v23
	s_mov_b32 s15, 0xbf7ee86f
	v_add_f32_e32 v33, v13, v12
	v_pk_mul_f32 v[12:13], v[8:9], s[14:15]
	v_sub_f32_e32 v146, v14, v15
	v_mov_b32_e32 v15, v12
	v_pk_fma_f32 v[120:121], v[8:9], s[14:15], v[14:15] neg_lo:[1,0,0] neg_hi:[1,0,0]
	v_mov_b32_e32 v8, v7
	v_mov_b32_e32 v9, v22
	v_pk_mul_f32 v[14:15], v[8:9], s[14:15]
	s_mov_b32 s3, 0xbf06c442
	v_mov_b32_e32 v25, v14
	v_add_f32_e32 v35, v13, v12
	s_mov_b32 s2, 0x3f2c7751
	v_mov_b32_e32 v12, v22
	v_mov_b32_e32 v13, v20
	s_mov_b32 s17, 0xbf59a7d5
	v_pk_fma_f32 v[92:93], v[8:9], s[14:15], v[24:25]
	v_mov_b32_e32 v9, v5
	s_mov_b32 s16, s30
	v_pk_mul_f32 v[12:13], v[12:13], s[2:3]
	v_pk_add_f32 v[40:41], v[10:11], v[66:67] neg_lo:[0,1] neg_hi:[0,1]
	v_pk_fma_f32 v[94:95], v[8:9], s[16:17], v[12:13]
	v_pk_fma_f32 v[96:97], v[8:9], s[16:17], v[12:13] neg_lo:[0,0,1] neg_hi:[0,0,1]
	v_pk_add_f32 v[8:9], v[10:11], v[66:67]
	s_mov_b32 s38, 0xbe8c1d8e
	v_mov_b32_e32 v10, v8
	v_mov_b32_e32 v11, v41
	s_mov_b32 s39, 0xbf763a35
	v_pk_mul_f32 v[12:13], v[10:11], s[38:39]
	v_sub_f32_e32 v147, v14, v15
	v_mov_b32_e32 v15, v12
	v_pk_fma_f32 v[122:123], v[10:11], s[38:39], v[14:15] neg_lo:[1,0,0] neg_hi:[1,0,0]
	v_mov_b32_e32 v10, v9
	v_mov_b32_e32 v11, v40
	v_pk_mul_f32 v[14:15], v[10:11], s[38:39]
	s_mov_b32 s26, 0xbf1a4643
	v_mov_b32_e32 v25, v14
	v_pk_fma_f32 v[98:99], v[10:11], s[38:39], v[24:25]
	v_pk_add_f32 v[10:11], v[80:81], v[72:73]
	v_pk_add_f32 v[42:43], v[80:81], v[72:73] neg_lo:[0,1] neg_hi:[0,1]
	v_add_f32_e32 v37, v13, v12
	s_mov_b32 s27, 0xbf4c4adb
	v_mov_b32_e32 v12, v10
	v_mov_b32_e32 v13, v43
	v_sub_f32_e32 v148, v14, v15
	v_pk_mul_f32 v[14:15], v[12:13], s[26:27]
	s_mov_b32 s92, 0x3f65296c
	v_mov_b32_e32 v25, v14
	v_pk_fma_f32 v[124:125], v[12:13], s[26:27], v[24:25] neg_lo:[1,0,0] neg_hi:[1,0,0]
	v_mov_b32_e32 v12, v11
	v_mov_b32_e32 v13, v42
	v_pk_mul_f32 v[44:45], v[12:13], s[26:27]
	v_add_f32_e32 v39, v15, v14
	v_mov_b32_e32 v25, v44
	v_mov_b32_e32 v14, v42
	v_mov_b32_e32 v15, v40
	s_mov_b32 s93, s27
	v_pk_fma_f32 v[100:101], v[12:13], s[26:27], v[24:25]
	v_mov_b32_e32 v13, v9
	s_mov_b32 s0, s34
	s_mov_b32 s1, s26
	v_pk_mul_f32 v[14:15], v[14:15], s[92:93]
	v_pk_add_f32 v[48:49], v[78:79], v[70:71] neg_lo:[0,1] neg_hi:[0,1]
	v_pk_fma_f32 v[102:103], v[12:13], s[0:1], v[14:15]
	v_pk_fma_f32 v[104:105], v[12:13], s[0:1], v[14:15] neg_lo:[0,0,1] neg_hi:[0,0,1]
	v_pk_add_f32 v[12:13], v[78:79], v[70:71]
	v_mov_b32_e32 v15, v49
	v_mov_b32_e32 v14, v12
	s_mov_b32 s0, s17
	s_mov_b32 s1, s3
	v_sub_f32_e32 v149, v44, v45
	v_pk_mul_f32 v[44:45], v[14:15], s[0:1]
	s_mov_b32 s80, 0xbf7ba420
	v_mov_b32_e32 v25, v44
	v_pk_fma_f32 v[126:127], v[14:15], s[0:1], v[24:25] neg_lo:[1,0,0] neg_hi:[1,0,0]
	v_mov_b32_e32 v14, v13
	v_mov_b32_e32 v15, v48
	v_pk_mul_f32 v[46:47], v[14:15], s[0:1]
	v_add_f32_e32 v57, v45, v44
	v_mov_b32_e32 v25, v46
	v_pk_mul_f32 v[44:45], v[14:15], s[38:39]
	v_pk_fma_f32 v[106:107], v[14:15], s[0:1], v[24:25]
	v_sub_f32_e32 v150, v46, v47
	v_mov_b32_e32 v46, v45
	v_mov_b32_e32 v25, v44
	v_pk_fma_f32 v[46:47], v[14:15], s[38:39], v[46:47]
	v_pk_fma_f32 v[44:45], v[14:15], s[38:39], v[24:25] neg_lo:[1,0,0] neg_hi:[1,0,0]
	v_pk_add_f32 v[14:15], v[76:77], v[82:83]
	v_pk_add_f32 v[50:51], v[76:77], v[82:83] neg_lo:[0,1] neg_hi:[0,1]
	s_mov_b32 s81, 0xbe3c28d5
	v_mov_b32_e32 v108, v14
	v_mov_b32_e32 v109, v51
	v_pk_mul_f32 v[112:113], v[108:109], s[80:81]
	s_waitcnt vmcnt(0)
	v_mov_b32_e32 v111, v64
	v_mov_b32_e32 v25, v112
	v_pk_fma_f32 v[128:129], v[108:109], s[80:81], v[24:25] neg_lo:[1,0,0] neg_hi:[1,0,0]
	v_mov_b32_e32 v108, v15
	v_mov_b32_e32 v109, v50
	v_add_f32_e32 v59, v113, v112
	v_mov_b32_e32 v112, v80
	v_mov_b32_e32 v113, v74
	v_pk_add_f32 v[18:19], v[74:75], v[64:65] neg_lo:[0,1] neg_hi:[0,1]
	v_pk_mul_f32 v[130:131], v[108:109], s[80:81]
	v_pk_add_f32 v[112:113], v[112:113], v[110:111]
	v_mul_f32_e32 v115, 0xbeb8f4ab, v19
	v_mov_b32_e32 v25, v130
	v_sub_f32_e32 v151, v130, v131
	v_mov_b32_e32 v111, 0x3f6eb680
	v_mov_b32_e32 v110, v78
	v_pk_add_f32 v[130:131], v[78:79], v[112:113]
	v_mov_b32_e32 v114, v76
	v_pk_add_f32 v[130:131], v[130:131], v[76:77]
	v_pk_fma_f32 v[114:115], v[110:111], v[112:113], v[114:115] neg_lo:[0,0,1] neg_hi:[0,0,1]
	v_mov_b32_e32 v116, v70
	v_mov_b32_e32 v131, v115
	;; [unrolled: 1-line block ×4, first 2 shown]
	v_pk_add_f32 v[114:115], v[114:115], v[130:131]
	v_mov_b32_e32 v118, v72
	v_pk_add_f32 v[114:115], v[116:117], v[114:115]
	v_mov_b32_e32 v120, v66
	;; [unrolled: 2-line block ×3, first 2 shown]
	v_pk_add_f32 v[114:115], v[120:121], v[114:115]
	v_pk_fma_f32 v[108:109], v[108:109], s[80:81], v[24:25]
	v_lshlrev_b32_e32 v25, 2, v29
	v_pk_add_f32 v[114:115], v[122:123], v[114:115]
	v_mov_b32_e32 v124, v60
	v_add_u32_e32 v29, 0, v25
	s_movk_i32 s0, 0x44
	v_pk_add_f32 v[114:115], v[124:125], v[114:115]
	v_mov_b32_e32 v126, v62
	v_mad_u32_u24 v144, v24, s0, v29
	v_pk_add_f32 v[114:115], v[126:127], v[114:115]
	v_mov_b32_e32 v128, v64
	s_mov_b32 s0, s14
	s_mov_b32 s1, s26
	v_pk_add_f32 v[114:115], v[128:129], v[114:115]
	v_writelane_b32 v184, s0, 4
	ds_write2_b32 v144, v114, v115 offset1:1
	s_mov_b32 s10, s31
	v_writelane_b32 v184, s1, 5
	v_pk_mul_f32 v[114:115], v[2:3], s[0:1] op_sel_hi:[0,1]
	s_mov_b32 s0, s26
	s_mov_b32 s1, s80
	v_writelane_b32 v184, s0, 6
	s_mov_b32 s11, s35
	v_pk_mul_f32 v[132:133], v[110:111], v[112:113]
	v_writelane_b32 v184, s1, 7
	v_pk_mul_f32 v[116:117], v[4:5], s[0:1] op_sel_hi:[0,1]
	s_mov_b32 s0, s80
	s_mov_b32 s1, s38
	v_writelane_b32 v184, s0, 8
	s_mov_b32 s20, s15
	s_mov_b32 s21, s27
	v_writelane_b32 v184, s1, 9
	v_pk_mul_f32 v[118:119], v[6:7], s[0:1] op_sel_hi:[0,1]
	s_mov_b32 s0, s17
	s_mov_b32 s1, s30
	v_writelane_b32 v184, s0, 10
	v_fmac_f32_e32 v133, 0xbeb8f4ab, v19
	v_pk_fma_f32 v[130:131], v[16:17], s[20:21], v[114:115] op_sel:[1,0,0] neg_lo:[1,0,0] neg_hi:[1,0,0]
	v_writelane_b32 v184, s1, 11
	v_pk_mul_f32 v[120:121], v[8:9], s[0:1] op_sel_hi:[0,1]
	s_mov_b32 s0, s34
	s_mov_b32 s1, s14
	v_writelane_b32 v184, s0, 12
	s_mov_b32 s99, 0x3e3c28d5
	s_mov_b32 s98, s27
	v_writelane_b32 v184, s1, 13
	v_pk_mul_f32 v[124:125], v[12:13], s[0:1] op_sel_hi:[0,1]
	s_mov_b32 s0, s30
	s_mov_b32 s1, s34
	v_writelane_b32 v184, s0, 14
	v_add_f32_e32 v76, v133, v0
	v_pk_fma_f32 v[132:133], v[20:21], s[98:99], v[116:117] op_sel:[1,0,0] neg_lo:[1,0,0] neg_hi:[1,0,0]
	v_pk_mul_f32 v[128:129], v[112:113], s[0:1] op_sel:[1,0]
	s_mov_b32 s37, 0x3f763a35
	v_pk_fma_f32 v[152:153], v[18:19], s[10:11], v[128:129] op_sel:[1,0,0] neg_lo:[1,0,0] neg_hi:[1,0,0]
	s_mov_b32 s36, s81
	v_pk_add_f32 v[152:153], v[152:153], v[0:1] op_sel_hi:[1,0]
	s_mov_b32 s13, 0x3f6eb680
	v_pk_add_f32 v[130:131], v[130:131], v[152:153]
	v_pk_fma_f32 v[134:135], v[22:23], s[36:37], v[118:119] op_sel:[1,0,0] neg_lo:[1,0,0] neg_hi:[1,0,0]
	s_mov_b32 s6, 0x3f06c442
	s_mov_b32 s7, s2
	;; [unrolled: 1-line block ×3, first 2 shown]
	v_pk_add_f32 v[130:131], v[132:133], v[130:131]
	s_mov_b32 s25, 0xbeb8f4ab
	v_pk_fma_f32 v[136:137], v[40:41], s[6:7], v[120:121] op_sel:[1,0,0] neg_lo:[1,0,0] neg_hi:[1,0,0]
	v_pk_mul_f32 v[122:123], v[10:11], s[12:13] op_sel_hi:[0,1]
	s_mov_b32 s24, s37
	v_pk_add_f32 v[130:131], v[134:135], v[130:131]
	v_pk_fma_f32 v[138:139], v[42:43], s[24:25], v[122:123] op_sel:[1,0,0] neg_lo:[1,0,0] neg_hi:[1,0,0]
	s_mov_b32 s93, s15
	s_mov_b32 s16, s13
	v_pk_add_f32 v[130:131], v[136:137], v[130:131]
	s_mov_b32 s56, 0x3eb8f4ab
	v_pk_fma_f32 v[140:141], v[48:49], s[92:93], v[124:125] op_sel:[1,0,0] neg_lo:[1,0,0] neg_hi:[1,0,0]
	v_pk_mul_f32 v[126:127], v[14:15], s[16:17] op_sel_hi:[0,1]
	s_mov_b32 s57, s3
	v_pk_add_f32 v[130:131], v[138:139], v[130:131]
	v_pk_fma_f32 v[142:143], v[50:51], s[56:57], v[126:127] op_sel:[1,0,0] neg_lo:[1,0,0] neg_hi:[1,0,0]
	v_writelane_b32 v184, s1, 15
	v_pk_add_f32 v[130:131], v[140:141], v[130:131]
	s_mov_b32 s0, s80
	s_mov_b32 s1, s17
	;; [unrolled: 1-line block ×4, first 2 shown]
	v_pk_add_f32 v[130:131], v[142:143], v[130:131]
	s_mov_b32 s18, s15
	s_mov_b32 s19, s39
	v_writelane_b32 v184, s0, 16
	v_pk_mul_f32 v[166:167], v[112:113], s[50:51] op_sel:[1,0]
	ds_write2_b32 v144, v130, v131 offset0:2 offset1:3
	v_writelane_b32 v184, s1, 17
	v_pk_mul_f32 v[130:131], v[2:3], s[0:1] op_sel_hi:[0,1]
	s_mov_b32 s0, s81
	s_mov_b32 s1, s6
	s_mov_b32 s22, s38
	s_mov_b32 s23, s30
	v_pk_fma_f32 v[168:169], v[18:19], s[18:19], v[166:167] op_sel:[1,0,0] neg_lo:[1,0,0] neg_hi:[1,0,0]
	v_pk_fma_f32 v[152:153], v[16:17], s[0:1], v[130:131] op_sel:[1,0,0] neg_lo:[1,0,0] neg_hi:[1,0,0]
	v_pk_mul_f32 v[132:133], v[4:5], s[22:23] op_sel_hi:[0,1]
	s_mov_b32 s4, s37
	s_mov_b32 s5, s2
	;; [unrolled: 1-line block ×4, first 2 shown]
	v_pk_add_f32 v[168:169], v[168:169], v[0:1] op_sel_hi:[1,0]
	v_pk_fma_f32 v[154:155], v[20:21], s[4:5], v[132:133] op_sel:[1,0,0] neg_lo:[1,0,0] neg_hi:[1,0,0]
	v_pk_mul_f32 v[134:135], v[6:7], s[40:41] op_sel_hi:[0,1]
	s_mov_b32 s94, s56
	s_mov_b32 s95, s35
	;; [unrolled: 1-line block ×4, first 2 shown]
	v_pk_add_f32 v[152:153], v[152:153], v[168:169]
	v_pk_fma_f32 v[156:157], v[22:23], s[94:95], v[134:135] op_sel:[1,0,0] neg_lo:[1,0,0] neg_hi:[1,0,0]
	v_pk_mul_f32 v[136:137], v[8:9], s[42:43] op_sel_hi:[0,1]
	s_mov_b32 s96, s35
	s_mov_b32 s97, s81
	;; [unrolled: 1-line block ×4, first 2 shown]
	v_pk_add_f32 v[152:153], v[154:155], v[152:153]
	s_mov_b32 s53, 0x3f7ee86f
	v_pk_fma_f32 v[158:159], v[40:41], s[96:97], v[136:137] op_sel:[1,0,0] neg_lo:[1,0,0] neg_hi:[1,0,0]
	v_pk_mul_f32 v[138:139], v[10:11], s[44:45] op_sel_hi:[0,1]
	s_mov_b32 s52, s3
	s_mov_b32 s46, s26
	;; [unrolled: 1-line block ×3, first 2 shown]
	v_pk_add_f32 v[152:153], v[156:157], v[152:153]
	v_pk_fma_f32 v[160:161], v[42:43], s[52:53], v[138:139] op_sel:[1,0,0] neg_lo:[1,0,0] neg_hi:[1,0,0]
	v_pk_mul_f32 v[140:141], v[12:13], s[46:47] op_sel_hi:[0,1]
	s_mov_b32 s60, 0x3f4c4adb
	s_mov_b32 s61, s25
	;; [unrolled: 1-line block ×4, first 2 shown]
	v_pk_add_f32 v[152:153], v[158:159], v[152:153]
	v_pk_fma_f32 v[162:163], v[48:49], s[60:61], v[140:141] op_sel:[1,0,0] neg_lo:[1,0,0] neg_hi:[1,0,0]
	v_pk_mul_f32 v[142:143], v[14:15], s[48:49] op_sel_hi:[0,1]
	s_mov_b32 s64, s2
	s_mov_b32 s65, s27
	v_pk_add_f32 v[152:153], v[160:161], v[152:153]
	v_pk_fma_f32 v[164:165], v[50:51], s[64:65], v[142:143] op_sel:[1,0,0] neg_lo:[1,0,0] neg_hi:[1,0,0]
	v_pk_add_f32 v[152:153], v[162:163], v[152:153]
	s_mov_b32 s54, s26
	s_mov_b32 s55, s17
	v_mul_f32_e32 v74, 0xbf7ba420, v113
	v_pk_add_f32 v[152:153], v[164:165], v[152:153]
	s_mov_b32 s90, s27
	s_mov_b32 s91, s3
	;; [unrolled: 1-line block ×4, first 2 shown]
	v_pk_mul_f32 v[112:113], v[112:113], s[54:55] op_sel:[1,0]
	ds_write2_b32 v144, v152, v153 offset0:4 offset1:5
	v_pk_mul_f32 v[152:153], v[2:3], s[58:59] op_sel_hi:[0,1]
	s_mov_b32 s86, s37
	s_mov_b32 s87, s92
	;; [unrolled: 1-line block ×4, first 2 shown]
	v_pk_fma_f32 v[182:183], v[18:19], s[90:91], v[112:113] op_sel:[1,0,0] neg_lo:[1,0,0] neg_hi:[1,0,0]
	v_pk_fma_f32 v[154:155], v[16:17], s[86:87], v[152:153] op_sel:[1,0,0] neg_lo:[1,0,0] neg_hi:[1,0,0]
	v_pk_mul_f32 v[156:157], v[4:5], s[62:63] op_sel_hi:[0,1]
	s_mov_b32 s88, s25
	s_mov_b32 s89, s15
	;; [unrolled: 1-line block ×4, first 2 shown]
	v_pk_add_f32 v[182:183], v[182:183], v[0:1] op_sel_hi:[1,0]
	v_add_f32_e32 v31, v31, v76
	v_pk_fma_f32 v[158:159], v[20:21], s[88:89], v[156:157] op_sel:[1,0,0] neg_lo:[1,0,0] neg_hi:[1,0,0]
	v_pk_mul_f32 v[160:161], v[6:7], s[66:67] op_sel_hi:[0,1]
	s_mov_b32 s82, s3
	s_mov_b32 s83, s60
	s_mov_b32 s68, s14
	s_mov_b32 s69, s13
	v_pk_add_f32 v[154:155], v[154:155], v[182:183]
	v_add_f32_e32 v31, v33, v31
	v_pk_fma_f32 v[162:163], v[22:23], s[82:83], v[160:161] op_sel:[1,0,0] neg_lo:[1,0,0] neg_hi:[1,0,0]
	v_pk_mul_f32 v[164:165], v[8:9], s[68:69] op_sel_hi:[0,1]
	s_mov_b32 s84, s53
	s_mov_b32 s85, s25
	s_mov_b32 s70, s30
	s_mov_b32 s71, s80
	v_pk_add_f32 v[154:155], v[158:159], v[154:155]
	;; [unrolled: 8-line block ×4, first 2 shown]
	v_add_f32_e32 v31, v39, v31
	v_pk_fma_f32 v[176:177], v[48:49], s[78:79], v[174:175] op_sel:[1,0,0] neg_lo:[1,0,0] neg_hi:[1,0,0]
	v_pk_mul_f32 v[178:179], v[14:15], s[74:75] op_sel_hi:[0,1]
	s_mov_b32 s76, s92
	s_mov_b32 s77, s39
	v_pk_add_f32 v[154:155], v[172:173], v[154:155]
	v_add_f32_e32 v31, v57, v31
	v_pk_fma_f32 v[180:181], v[50:51], s[76:77], v[178:179] op_sel:[1,0,0] neg_lo:[1,0,0] neg_hi:[1,0,0]
	v_pk_add_f32 v[154:155], v[176:177], v[154:155]
	v_mul_f32_e32 v30, 0x3f6eb680, v2
	v_mul_f32_e32 v32, 0x3eb8f4ab, v17
	v_add_f32_e32 v31, v59, v31
	v_pk_add_f32 v[154:155], v[180:181], v[154:155]
	v_mul_f32_e32 v34, 0xbf59a7d5, v4
	v_mul_f32_e32 v36, 0xbf06c442, v21
	ds_write2_b32 v144, v154, v155 offset0:6 offset1:7
	v_pk_add_f32 v[154:155], v[30:31], v[32:33] neg_lo:[0,1] neg_hi:[0,1]
	v_pk_add_f32 v[32:33], v[30:31], v[32:33]
	v_mul_f32_e32 v38, 0x3f3d2fb0, v6
	v_mul_f32_e32 v52, 0x3f2c7751, v23
	;; [unrolled: 1-line block ×3, first 2 shown]
	v_mov_b32_e32 v155, v32
	v_pk_add_f32 v[32:33], v[34:35], v[36:37] neg_lo:[0,1] neg_hi:[0,1]
	v_pk_add_f32 v[34:35], v[34:35], v[36:37]
	v_mul_f32_e32 v54, 0xbf1a4643, v8
	v_mul_f32_e32 v56, 0xbf4c4adb, v41
	;; [unrolled: 1-line block ×3, first 2 shown]
	v_mov_b32_e32 v33, v34
	v_pk_add_f32 v[34:35], v[38:39], v[52:53] neg_lo:[0,1] neg_hi:[0,1]
	v_pk_add_f32 v[36:37], v[38:39], v[52:53]
	v_mul_f32_e32 v58, 0x3ee437d1, v10
	v_mul_f32_e32 v84, 0x3f65296c, v43
	v_mov_b32_e32 v35, v36
	v_pk_add_f32 v[36:37], v[54:55], v[56:57] neg_lo:[0,1] neg_hi:[0,1]
	v_pk_add_f32 v[38:39], v[54:55], v[56:57]
	v_mul_f32_e32 v87, 0xbeb8f4ab, v18
	v_mul_f32_e32 v86, 0xbe8c1d8e, v12
	;; [unrolled: 1-line block ×3, first 2 shown]
	v_mov_b32_e32 v37, v38
	v_pk_add_f32 v[38:39], v[58:59], v[84:85] neg_lo:[0,1] neg_hi:[0,1]
	v_pk_add_f32 v[56:57], v[58:59], v[84:85]
	v_mul_f32_e32 v44, 0x3dbcf732, v14
	v_mul_f32_e32 v92, 0x3f7ee86f, v51
	v_mov_b32_e32 v39, v56
	v_pk_add_f32 v[56:57], v[86:87], v[90:91] neg_lo:[0,1] neg_hi:[0,1]
	v_pk_add_f32 v[58:59], v[86:87], v[90:91]
	v_mul_f32_e32 v28, 0xbe3c28d5, v19
	v_mov_b32_e32 v57, v58
	v_pk_add_f32 v[58:59], v[44:45], v[92:93] neg_lo:[0,1] neg_hi:[0,1]
	v_pk_add_f32 v[158:159], v[44:45], v[92:93]
	v_pk_add_f32 v[162:163], v[74:75], v[28:29]
	v_mov_b32_e32 v59, v158
	v_pk_add_f32 v[158:159], v[74:75], v[28:29] neg_lo:[0,1] neg_hi:[0,1]
	v_pk_fma_f32 v[112:113], v[18:19], s[90:91], v[112:113] op_sel:[1,0,0]
	v_mov_b32_e32 v159, v162
	v_pk_add_f32 v[158:159], v[158:159], v[0:1] op_sel_hi:[1,0]
	v_pk_add_f32 v[112:113], v[112:113], v[0:1] op_sel_hi:[1,0]
	v_pk_add_f32 v[154:155], v[154:155], v[158:159]
	v_mov_b32_e32 v74, v81
	v_pk_add_f32 v[32:33], v[32:33], v[154:155]
	v_mov_b32_e32 v89, v65
	v_pk_add_f32 v[32:33], v[34:35], v[32:33]
	v_pk_fma_f32 v[34:35], v[20:21], s[88:89], v[156:157] op_sel:[1,0,0]
	v_pk_add_f32 v[32:33], v[36:37], v[32:33]
	v_pk_fma_f32 v[36:37], v[22:23], s[82:83], v[160:161] op_sel:[1,0,0]
	;; [unrolled: 2-line block ×4, first 2 shown]
	v_pk_add_f32 v[32:33], v[58:59], v[32:33]
	ds_write2_b32 v144, v32, v33 offset0:8 offset1:9
	v_pk_fma_f32 v[32:33], v[16:17], s[86:87], v[152:153] op_sel:[1,0,0]
	v_pk_fma_f32 v[58:59], v[48:49], s[78:79], v[174:175] op_sel:[1,0,0]
	v_pk_add_f32 v[32:33], v[32:33], v[112:113]
	v_pk_fma_f32 v[152:153], v[50:51], s[76:77], v[178:179] op_sel:[1,0,0]
	v_pk_add_f32 v[32:33], v[34:35], v[32:33]
	;; [unrolled: 2-line block ×7, first 2 shown]
	ds_write2_b32 v144, v33, v32 offset0:10 offset1:11
	v_pk_fma_f32 v[32:33], v[16:17], s[0:1], v[130:131] op_sel:[1,0,0]
	v_pk_fma_f32 v[130:131], v[18:19], s[18:19], v[166:167] op_sel:[1,0,0]
	;; [unrolled: 1-line block ×3, first 2 shown]
	v_pk_add_f32 v[130:131], v[130:131], v[0:1] op_sel_hi:[1,0]
	v_pk_add_f32 v[74:75], v[74:75], v[88:89]
	v_pk_add_f32 v[32:33], v[32:33], v[130:131]
	v_mov_b32_e32 v110, v79
	v_pk_add_f32 v[32:33], v[34:35], v[32:33]
	v_pk_add_f32 v[78:79], v[110:111], v[74:75]
	;; [unrolled: 1-line block ×3, first 2 shown]
	v_pk_mul_f32 v[80:81], v[110:111], v[74:75]
	v_pk_add_f32 v[32:33], v[38:39], v[32:33]
	v_mov_b32_e32 v79, v81
	v_pk_add_f32 v[32:33], v[56:57], v[32:33]
	v_mov_b32_e32 v86, v77
	v_pk_add_f32 v[32:33], v[58:59], v[32:33]
	v_pk_add_f32 v[76:77], v[86:87], v[78:79]
	v_pk_add_f32 v[32:33], v[112:113], v[32:33]
	ds_write2_b32 v144, v33, v32 offset0:12 offset1:13
	v_pk_fma_f32 v[32:33], v[16:17], s[20:21], v[114:115] op_sel:[1,0,0]
	v_pk_fma_f32 v[114:115], v[18:19], s[10:11], v[128:129] op_sel:[1,0,0]
	v_mov_b32_e32 v78, v83
	v_pk_add_f32 v[114:115], v[114:115], v[0:1] op_sel_hi:[1,0]
	v_mov_b32_e32 v79, v1
	v_pk_fma_f32 v[34:35], v[20:21], s[98:99], v[116:117] op_sel:[1,0,0]
	v_pk_add_f32 v[32:33], v[32:33], v[114:115]
	v_pk_add_f32 v[76:77], v[78:79], v[76:77]
	v_mov_b32_e32 v84, v71
	v_pk_fma_f32 v[36:37], v[22:23], s[36:37], v[118:119] op_sel:[1,0,0]
	v_pk_add_f32 v[32:33], v[34:35], v[32:33]
	v_fmac_f32_e32 v81, 0x3eb8f4ab, v18
	v_mov_b32_e32 v78, v16
	v_mov_b32_e32 v79, v18
	s_mov_b32 s8, s56
	s_mov_b32 s9, s81
	v_pk_add_f32 v[70:71], v[84:85], v[76:77]
	v_mov_b32_e32 v90, v73
	v_pk_fma_f32 v[38:39], v[40:41], s[6:7], v[120:121] op_sel:[1,0,0]
	v_pk_add_f32 v[32:33], v[36:37], v[32:33]
	v_add_f32_e32 v44, v81, v1
	v_pk_mul_f32 v[78:79], v[78:79], s[8:9]
	v_mov_b32_e32 v80, v3
	v_mov_b32_e32 v81, v75
	s_mov_b32 s8, s13
	s_mov_b32 s9, s80
	v_pk_add_f32 v[70:71], v[90:91], v[70:71]
	v_mov_b32_e32 v92, v67
	v_pk_fma_f32 v[56:57], v[42:43], s[24:25], v[122:123] op_sel:[1,0,0]
	v_pk_add_f32 v[32:33], v[38:39], v[32:33]
	v_pk_fma_f32 v[82:83], v[80:81], s[8:9], v[78:79]
	v_pk_fma_f32 v[78:79], v[80:81], s[8:9], v[78:79] neg_lo:[0,0,1] neg_hi:[0,0,1]
	v_pk_add_f32 v[66:67], v[92:93], v[70:71]
	v_mov_b32_e32 v98, v69
	v_pk_fma_f32 v[58:59], v[48:49], s[92:93], v[124:125] op_sel:[1,0,0]
	v_pk_add_f32 v[32:33], v[56:57], v[32:33]
	v_add_f32_e32 v54, v79, v1
	v_pk_add_f32 v[66:67], v[98:99], v[66:67]
	v_mov_b32_e32 v100, v61
	v_pk_fma_f32 v[112:113], v[50:51], s[56:57], v[126:127] op_sel:[1,0,0]
	v_pk_add_f32 v[32:33], v[58:59], v[32:33]
	v_lshlrev_b32_e32 v28, 6, v24
	v_add_f32_e32 v54, v78, v54
	v_pk_add_f32 v[60:61], v[100:101], v[66:67]
	v_mov_b32_e32 v106, v63
	v_pk_add_f32 v[32:33], v[112:113], v[32:33]
	v_sub_u32_e32 v112, v144, v28
	v_add_f32_e32 v52, v83, v1
	v_add_f32_e32 v54, v97, v54
	v_pk_add_f32 v[60:61], v[106:107], v[60:61]
	v_mov_b32_e32 v108, v65
	v_lshl_add_u32 v113, v24, 2, v29
	v_add_u32_e32 v115, 0x200, v112
	v_add_u32_e32 v114, 0x400, v112
	;; [unrolled: 1-line block ×3, first 2 shown]
	v_add_f32_e32 v52, v82, v52
	v_add_f32_e32 v54, v96, v54
	v_pk_add_f32 v[60:61], v[108:109], v[60:61]
	v_pk_mul_f32 v[76:77], v[50:51], s[56:57] op_sel_hi:[0,1]
	v_readlane_b32 s56, v184, 14
	ds_write2_b32 v144, v33, v32 offset0:14 offset1:15
	ds_write_b32 v144, v31 offset:64
	s_waitcnt lgkmcnt(0)
	s_barrier
	ds_read_b32 v116, v113
	ds_read2_b32 v[58:59], v112 offset0:34 offset1:68
	ds_read2_b32 v[38:39], v112 offset0:102 offset1:136
	;; [unrolled: 1-line block ×8, first 2 shown]
	s_waitcnt lgkmcnt(0)
	s_barrier
	v_add_f32_e32 v52, v95, v52
	v_add_f32_e32 v62, v105, v54
	ds_write2_b32 v144, v60, v61 offset1:1
	v_pk_mul_f32 v[60:61], v[18:19], s[10:11] op_sel_hi:[0,1]
	v_readlane_b32 s8, v184, 4
	v_readlane_b32 s57, v184, 15
	v_add_f32_e32 v52, v94, v52
	v_add_f32_e32 v85, v104, v62
	v_pk_mul_f32 v[62:63], v[16:17], s[20:21] op_sel_hi:[0,1]
	v_readlane_b32 s9, v184, 5
	v_readlane_b32 s10, v184, 6
	v_pk_fma_f32 v[94:95], v[74:75], s[56:57], v[60:61] op_sel:[1,0,0]
	v_pk_fma_f32 v[78:79], v[2:3], s[8:9], v[62:63] op_sel:[1,0,0]
	v_pk_mul_f32 v[64:65], v[20:21], s[98:99] op_sel_hi:[0,1]
	v_readlane_b32 s11, v184, 7
	v_readlane_b32 s20, v184, 8
	v_pk_add_f32 v[94:95], v[94:95], v[0:1] op_sel:[0,1]
	v_pk_fma_f32 v[80:81], v[4:5], s[10:11], v[64:65] op_sel:[1,0,0]
	v_pk_mul_f32 v[66:67], v[22:23], s[36:37] op_sel_hi:[0,1]
	v_readlane_b32 s21, v184, 9
	v_pk_mul_f32 v[68:69], v[40:41], s[6:7] op_sel_hi:[0,1]
	v_readlane_b32 s6, v184, 10
	v_pk_add_f32 v[78:79], v[78:79], v[94:95]
	v_pk_fma_f32 v[82:83], v[6:7], s[20:21], v[66:67] op_sel:[1,0,0]
	v_readlane_b32 s7, v184, 11
	v_pk_add_f32 v[78:79], v[80:81], v[78:79]
	v_pk_mul_f32 v[70:71], v[42:43], s[24:25] op_sel_hi:[0,1]
	v_pk_fma_f32 v[86:87], v[8:9], s[6:7], v[68:69] op_sel:[1,0,0]
	v_readlane_b32 s36, v184, 12
	v_pk_add_f32 v[78:79], v[82:83], v[78:79]
	v_pk_fma_f32 v[88:89], v[10:11], s[12:13], v[70:71] op_sel:[1,0,0]
	v_pk_mul_f32 v[72:73], v[48:49], s[92:93] op_sel_hi:[0,1]
	v_readlane_b32 s37, v184, 13
	v_pk_add_f32 v[78:79], v[86:87], v[78:79]
	v_pk_fma_f32 v[92:93], v[14:15], s[16:17], v[76:77] op_sel:[1,0,0]
	v_pk_fma_f32 v[90:91], v[12:13], s[36:37], v[72:73] op_sel:[1,0,0]
	v_pk_add_f32 v[78:79], v[88:89], v[78:79]
	v_pk_mul_f32 v[80:81], v[16:17], s[0:1] op_sel_hi:[0,1]
	v_pk_add_f32 v[78:79], v[90:91], v[78:79]
	v_pk_mul_f32 v[82:83], v[20:21], s[4:5] op_sel_hi:[0,1]
	v_pk_add_f32 v[78:79], v[92:93], v[78:79]
	ds_write2_b32 v144, v78, v79 offset0:2 offset1:3
	v_pk_mul_f32 v[78:79], v[18:19], s[18:19] op_sel_hi:[0,1]
	v_readlane_b32 s18, v184, 16
	v_readlane_b32 s19, v184, 17
	v_pk_fma_f32 v[118:119], v[74:75], s[50:51], v[78:79] op_sel:[1,0,0]
	v_pk_fma_f32 v[98:99], v[4:5], s[22:23], v[82:83] op_sel:[1,0,0]
	;; [unrolled: 1-line block ×3, first 2 shown]
	v_pk_add_f32 v[118:119], v[118:119], v[0:1] op_sel:[0,1]
	v_pk_mul_f32 v[86:87], v[22:23], s[94:95] op_sel_hi:[0,1]
	v_pk_add_f32 v[92:93], v[92:93], v[118:119]
	v_add_f32_e32 v52, v103, v52
	v_pk_fma_f32 v[100:101], v[6:7], s[40:41], v[86:87] op_sel:[1,0,0]
	v_pk_mul_f32 v[88:89], v[40:41], s[96:97] op_sel_hi:[0,1]
	v_pk_add_f32 v[92:93], v[98:99], v[92:93]
	v_add_f32_e32 v54, v102, v52
	v_pk_fma_f32 v[102:103], v[8:9], s[42:43], v[88:89] op_sel:[1,0,0]
	v_pk_mul_f32 v[90:91], v[42:43], s[52:53] op_sel_hi:[0,1]
	v_pk_add_f32 v[92:93], v[100:101], v[92:93]
	v_pk_fma_f32 v[106:107], v[10:11], s[44:45], v[90:91] op_sel:[1,0,0]
	v_pk_mul_f32 v[94:95], v[48:49], s[60:61] op_sel_hi:[0,1]
	v_pk_add_f32 v[92:93], v[102:103], v[92:93]
	;; [unrolled: 3-line block ×3, first 2 shown]
	v_pk_fma_f32 v[110:111], v[14:15], s[48:49], v[96:97] op_sel:[1,0,0]
	v_pk_add_f32 v[92:93], v[108:109], v[92:93]
	v_pk_mul_f32 v[18:19], v[18:19], s[90:91] op_sel_hi:[0,1]
	v_pk_add_f32 v[92:93], v[110:111], v[92:93]
	v_pk_mul_f32 v[16:17], v[16:17], s[86:87] op_sel_hi:[0,1]
	v_pk_fma_f32 v[118:119], v[74:75], s[54:55], v[18:19] op_sel:[1,0,0]
	ds_write2_b32 v144, v92, v93 offset0:4 offset1:5
	v_pk_fma_f32 v[92:93], v[2:3], s[58:59], v[16:17] op_sel:[1,0,0]
	v_pk_mul_f32 v[20:21], v[20:21], s[88:89] op_sel_hi:[0,1]
	v_pk_add_f32 v[118:119], v[118:119], v[0:1] op_sel:[0,1]
	v_pk_fma_f32 v[98:99], v[4:5], s[62:63], v[20:21] op_sel:[1,0,0]
	v_pk_mul_f32 v[22:23], v[22:23], s[82:83] op_sel_hi:[0,1]
	v_pk_add_f32 v[92:93], v[92:93], v[118:119]
	v_add_f32_e32 v44, v145, v44
	v_pk_fma_f32 v[100:101], v[6:7], s[66:67], v[22:23] op_sel:[1,0,0]
	v_pk_mul_f32 v[40:41], v[40:41], s[84:85] op_sel_hi:[0,1]
	v_pk_add_f32 v[92:93], v[98:99], v[92:93]
	v_add_f32_e32 v44, v146, v44
	;; [unrolled: 4-line block ×4, first 2 shown]
	v_pk_fma_f32 v[108:109], v[12:13], s[72:73], v[48:49] op_sel:[1,0,0]
	v_pk_mul_f32 v[50:51], v[50:51], s[76:77] op_sel_hi:[0,1]
	v_pk_add_f32 v[92:93], v[106:107], v[92:93]
	v_pk_fma_f32 v[18:19], v[74:75], s[54:55], v[18:19] op_sel:[1,0,0] neg_lo:[0,0,1] neg_hi:[0,0,1]
	v_add_f32_e32 v44, v149, v44
	v_pk_fma_f32 v[110:111], v[14:15], s[74:75], v[50:51] op_sel:[1,0,0]
	v_pk_add_f32 v[92:93], v[108:109], v[92:93]
	v_pk_fma_f32 v[16:17], v[2:3], s[58:59], v[16:17] op_sel:[1,0,0] neg_lo:[0,0,1] neg_hi:[0,0,1]
	v_pk_add_f32 v[18:19], v[18:19], v[0:1] op_sel:[0,1]
	v_add_f32_e32 v44, v150, v44
	v_pk_add_f32 v[92:93], v[110:111], v[92:93]
	v_mov_b32_e32 v52, v46
	v_pk_fma_f32 v[20:21], v[4:5], s[62:63], v[20:21] op_sel:[1,0,0] neg_lo:[0,0,1] neg_hi:[0,0,1]
	v_pk_add_f32 v[16:17], v[16:17], v[18:19]
	v_add_f32_e32 v104, v151, v44
	ds_write2_b32 v144, v92, v93 offset0:6 offset1:7
	v_pk_add_f32 v[46:47], v[54:55], v[46:47]
	v_pk_add_f32 v[92:93], v[54:55], v[52:53] neg_lo:[0,1] neg_hi:[0,1]
	v_mov_b32_e32 v84, v55
	v_mov_b32_e32 v44, v53
	v_pk_fma_f32 v[22:23], v[6:7], s[66:67], v[22:23] op_sel:[1,0,0] neg_lo:[0,0,1] neg_hi:[0,0,1]
	v_pk_add_f32 v[16:17], v[20:21], v[16:17]
	v_mov_b32_e32 v47, v93
	v_pk_add_f32 v[44:45], v[84:85], v[44:45]
	v_pk_fma_f32 v[40:41], v[8:9], s[68:69], v[40:41] op_sel:[1,0,0] neg_lo:[0,0,1] neg_hi:[0,0,1]
	v_pk_add_f32 v[16:17], v[22:23], v[16:17]
	v_pk_add_f32 v[44:45], v[44:45], v[46:47]
	v_pk_fma_f32 v[42:43], v[10:11], s[70:71], v[42:43] op_sel:[1,0,0] neg_lo:[0,0,1] neg_hi:[0,0,1]
	v_pk_add_f32 v[16:17], v[40:41], v[16:17]
	ds_write2_b32 v144, v44, v45 offset0:8 offset1:9
	v_pk_fma_f32 v[44:45], v[12:13], s[72:73], v[48:49] op_sel:[1,0,0] neg_lo:[0,0,1] neg_hi:[0,0,1]
	v_pk_add_f32 v[16:17], v[42:43], v[16:17]
	v_pk_fma_f32 v[46:47], v[14:15], s[74:75], v[50:51] op_sel:[1,0,0] neg_lo:[0,0,1] neg_hi:[0,0,1]
	v_pk_add_f32 v[16:17], v[44:45], v[16:17]
	v_pk_fma_f32 v[18:19], v[4:5], s[22:23], v[82:83] op_sel:[1,0,0] neg_lo:[0,0,1] neg_hi:[0,0,1]
	v_pk_add_f32 v[16:17], v[46:47], v[16:17]
	v_pk_fma_f32 v[46:47], v[74:75], s[50:51], v[78:79] op_sel:[1,0,0] neg_lo:[0,0,1] neg_hi:[0,0,1]
	ds_write2_b32 v144, v17, v16 offset0:10 offset1:11
	v_pk_fma_f32 v[16:17], v[2:3], s[18:19], v[80:81] op_sel:[1,0,0] neg_lo:[0,0,1] neg_hi:[0,0,1]
	v_pk_add_f32 v[46:47], v[46:47], v[0:1] op_sel:[0,1]
	v_pk_fma_f32 v[20:21], v[6:7], s[40:41], v[86:87] op_sel:[1,0,0] neg_lo:[0,0,1] neg_hi:[0,0,1]
	v_pk_add_f32 v[16:17], v[16:17], v[46:47]
	v_pk_fma_f32 v[22:23], v[8:9], s[42:43], v[88:89] op_sel:[1,0,0] neg_lo:[0,0,1] neg_hi:[0,0,1]
	v_pk_add_f32 v[16:17], v[18:19], v[16:17]
	;; [unrolled: 2-line block ×7, first 2 shown]
	ds_write2_b32 v144, v17, v16 offset0:12 offset1:13
	v_pk_fma_f32 v[16:17], v[74:75], s[56:57], v[60:61] op_sel:[1,0,0] neg_lo:[0,0,1] neg_hi:[0,0,1]
	v_pk_fma_f32 v[6:7], v[6:7], s[20:21], v[66:67] op_sel:[1,0,0] neg_lo:[0,0,1] neg_hi:[0,0,1]
	v_pk_add_f32 v[0:1], v[16:17], v[0:1] op_sel:[0,1]
	v_pk_fma_f32 v[8:9], v[8:9], s[6:7], v[68:69] op_sel:[1,0,0] neg_lo:[0,0,1] neg_hi:[0,0,1]
	v_pk_add_f32 v[0:1], v[2:3], v[0:1]
	v_pk_fma_f32 v[10:11], v[10:11], s[12:13], v[70:71] op_sel:[1,0,0] neg_lo:[0,0,1] neg_hi:[0,0,1]
	v_pk_add_f32 v[0:1], v[4:5], v[0:1]
	;; [unrolled: 2-line block ×4, first 2 shown]
	v_subrev_u32_e32 v40, 17, v24
	v_pk_add_f32 v[0:1], v[10:11], v[0:1]
	v_cmp_gt_u32_e64 s[0:1], 17, v24
	v_pk_add_f32 v[0:1], v[12:13], v[0:1]
	v_readlane_b32 s8, v184, 0
	v_pk_add_f32 v[0:1], v[14:15], v[0:1]
	v_cndmask_b32_e64 v72, v40, v24, s[0:1]
	ds_write2_b32 v144, v1, v0 offset0:14 offset1:15
	ds_write_b32 v144, v104 offset:64
	v_lshlrev_b32_e32 v0, 4, v72
	v_mov_b32_e32 v1, 0
	v_readlane_b32 s9, v184, 1
	s_waitcnt lgkmcnt(0)
	s_barrier
	v_lshl_add_u64 v[48:49], v[0:1], 3, s[8:9]
	ds_read_b32 v41, v113
	ds_read2_b32 v[46:47], v112 offset0:34 offset1:68
	ds_read2_b32 v[50:51], v112 offset0:102 offset1:136
	;; [unrolled: 1-line block ×8, first 2 shown]
	global_load_dwordx4 v[0:3], v[48:49], off offset:48
	global_load_dwordx4 v[8:11], v[48:49], off offset:32
	;; [unrolled: 1-line block ×3, first 2 shown]
	global_load_dwordx4 v[42:45], v[48:49], off
	global_load_dwordx4 v[4:7], v[48:49], off offset:64
	global_load_dwordx4 v[12:15], v[48:49], off offset:80
	;; [unrolled: 1-line block ×4, first 2 shown]
	v_mov_b32_e32 v48, v59
	v_mov_b32_e32 v49, v58
	s_waitcnt lgkmcnt(7)
	v_mov_b32_e32 v82, v47
	v_mov_b32_e32 v83, v46
	s_mov_b32 s24, s31
	s_mov_b32 s12, s30
	;; [unrolled: 1-line block ×7, first 2 shown]
	s_waitcnt lgkmcnt(0)
	s_barrier
	v_readlane_b32 s10, v184, 2
	v_readlane_b32 s11, v184, 3
	s_waitcnt vmcnt(4)
	v_mov_b32_e32 v59, v42
	v_mov_b32_e32 v42, v45
	;; [unrolled: 1-line block ×3, first 2 shown]
	v_pk_mul_f32 v[44:45], v[82:83], v[42:43]
	v_pk_mul_f32 v[42:43], v[48:49], v[42:43]
	s_waitcnt vmcnt(0)
	v_mov_b32_e32 v81, v76
	v_pk_fma_f32 v[46:47], v[82:83], v[58:59], v[42:43]
	v_mov_b32_e32 v43, v76
	v_mov_b32_e32 v76, v75
	v_pk_fma_f32 v[44:45], v[48:49], v[58:59], v[44:45] neg_lo:[0,0,1] neg_hi:[0,0,1]
	v_mov_b32_e32 v42, v74
	v_pk_mul_f32 v[48:49], v[78:79], v[76:77]
	v_mov_b32_e32 v80, v75
	v_pk_fma_f32 v[48:49], v[56:57], v[42:43], v[48:49] neg_lo:[0,0,1] neg_hi:[0,0,1]
	v_mov_b32_e32 v43, v79
	v_mov_b32_e32 v79, v57
	;; [unrolled: 1-line block ×4, first 2 shown]
	v_pk_mul_f32 v[56:57], v[78:79], v[74:75]
	v_mov_b32_e32 v71, v22
	v_pk_fma_f32 v[42:43], v[42:43], v[80:81], v[56:57]
	v_add_f32_e32 v56, v116, v45
	v_pk_add_f32 v[58:59], v[46:47], v[42:43] neg_lo:[0,1] neg_hi:[0,1]
	v_add_f32_e32 v73, v56, v44
	v_pk_add_f32 v[56:57], v[44:45], v[48:49]
	v_pk_mul_f32 v[74:75], v[58:59], s[24:25]
	v_mul_f32_e32 v78, 0xbf2c7751, v59
	v_mul_f32_e32 v80, 0xbf65296c, v59
	;; [unrolled: 1-line block ×7, first 2 shown]
	v_pk_fma_f32 v[76:77], v[56:57], s[12:13], v[74:75] neg_lo:[0,0,1] neg_hi:[0,0,1]
	v_pk_fma_f32 v[74:75], v[56:57], s[12:13], v[74:75]
	v_fma_f32 v90, v57, s80, -v59
	v_fmac_f32_e32 v59, 0xbf7ba420, v57
	v_add_f32_e32 v75, v116, v75
	v_fma_f32 v79, v57, s30, -v78
	v_fmac_f32_e32 v78, 0x3f3d2fb0, v57
	v_fma_f32 v81, v57, s34, -v80
	v_fmac_f32_e32 v80, 0x3ee437d1, v57
	;; [unrolled: 2-line block ×6, first 2 shown]
	v_add_f32_e32 v57, v116, v59
	v_mul_f32_e32 v59, 0xbf7ee86f, v58
	v_add_f32_e32 v77, v116, v77
	v_add_f32_e32 v78, v116, v78
	;; [unrolled: 1-line block ×3, first 2 shown]
	v_fma_f32 v75, v56, s14, -v59
	v_fmac_f32_e32 v59, 0x3dbcf732, v56
	v_add_f32_e32 v76, v76, v77
	v_add_f32_e32 v77, v59, v78
	v_mul_f32_e32 v59, 0xbf4c4adb, v58
	v_add_f32_e32 v79, v116, v79
	v_add_f32_e32 v80, v116, v80
	v_fma_f32 v78, v56, s26, -v59
	v_fmac_f32_e32 v59, 0xbf1a4643, v56
	v_add_f32_e32 v75, v75, v79
	v_add_f32_e32 v79, v59, v80
	v_mul_f32_e32 v59, 0xbe3c28d5, v58
	v_add_f32_e32 v81, v116, v81
	v_add_f32_e32 v82, v116, v82
	;; [unrolled: 7-line block ×5, first 2 shown]
	v_fma_f32 v86, v56, s34, -v59
	v_fmac_f32_e32 v59, 0x3ee437d1, v56
	v_mul_f32_e32 v58, 0x3eb8f4ab, v58
	v_add_f32_e32 v89, v116, v89
	v_add_f32_e32 v90, v116, v90
	;; [unrolled: 1-line block ×4, first 2 shown]
	v_fma_f32 v59, v56, s13, -v58
	v_fmac_f32_e32 v58, 0x3f6eb680, v56
	v_add_f32_e32 v86, v86, v89
	v_add_f32_e32 v88, v59, v90
	;; [unrolled: 1-line block ×3, first 2 shown]
	v_mov_b32_e32 v56, v39
	v_mov_b32_e32 v57, v38
	v_mov_b32_e32 v39, v16
	v_mov_b32_e32 v58, v51
	v_mov_b32_e32 v59, v50
	v_mov_b32_e32 v16, v19
	v_mov_b32_e32 v38, v18
	v_pk_mul_f32 v[18:19], v[58:59], v[16:17]
	v_pk_mul_f32 v[16:17], v[56:57], v[16:17]
	v_pk_fma_f32 v[18:19], v[56:57], v[38:39], v[18:19] neg_lo:[0,0,1] neg_hi:[0,0,1]
	v_pk_fma_f32 v[38:39], v[58:59], v[38:39], v[16:17]
	v_mov_b32_e32 v17, v22
	v_mov_b32_e32 v22, v21
	;; [unrolled: 1-line block ×3, first 2 shown]
	v_pk_mul_f32 v[50:51], v[68:69], v[22:23]
	v_mov_b32_e32 v70, v21
	v_pk_fma_f32 v[50:51], v[36:37], v[16:17], v[50:51] neg_lo:[0,0,1] neg_hi:[0,0,1]
	v_mov_b32_e32 v17, v69
	v_mov_b32_e32 v69, v37
	;; [unrolled: 1-line block ×4, first 2 shown]
	v_pk_mul_f32 v[20:21], v[68:69], v[20:21]
	v_mov_b32_e32 v67, v14
	v_pk_fma_f32 v[16:17], v[16:17], v[70:71], v[20:21]
	v_add_f32_e32 v20, v73, v19
	v_pk_add_f32 v[22:23], v[38:39], v[16:17] neg_lo:[0,1] neg_hi:[0,1]
	v_add_f32_e32 v58, v20, v18
	v_pk_add_f32 v[20:21], v[18:19], v[50:51]
	v_pk_mul_f32 v[36:37], v[22:23], s[6:7]
	v_mul_f32_e32 v69, 0x3e3c28d5, v23
	v_pk_fma_f32 v[56:57], v[20:21], s[4:5], v[36:37] neg_lo:[0,0,1] neg_hi:[0,0,1]
	v_pk_fma_f32 v[36:37], v[20:21], s[4:5], v[36:37]
	v_fma_f32 v70, v21, s80, -v69
	v_mul_f32_e32 v71, 0x3f763a35, v23
	v_add_f32_e32 v57, v57, v76
	v_add_f32_e32 v37, v37, v74
	v_mul_f32_e32 v59, 0xbf4c4adb, v23
	v_add_f32_e32 v70, v70, v78
	v_fma_f32 v73, v21, s38, -v71
	v_mul_f32_e32 v74, 0x3f2c7751, v23
	v_mul_f32_e32 v76, 0xbeb8f4ab, v23
	;; [unrolled: 1-line block ×4, first 2 shown]
	v_fma_f32 v68, v21, s26, -v59
	v_fmac_f32_e32 v59, 0xbf1a4643, v21
	v_fmac_f32_e32 v69, 0xbf7ba420, v21
	v_add_f32_e32 v73, v73, v80
	v_fma_f32 v80, v21, s17, -v23
	v_fmac_f32_e32 v23, 0xbf59a7d5, v21
	v_add_f32_e32 v68, v68, v75
	v_add_f32_e32 v59, v59, v77
	;; [unrolled: 1-line block ×3, first 2 shown]
	v_fmac_f32_e32 v71, 0xbe8c1d8e, v21
	v_fma_f32 v75, v21, s30, -v74
	v_fmac_f32_e32 v74, 0x3f3d2fb0, v21
	v_fma_f32 v77, v21, s13, -v76
	;; [unrolled: 2-line block ×3, first 2 shown]
	v_fmac_f32_e32 v78, 0x3dbcf732, v21
	v_add_f32_e32 v21, v23, v89
	v_mul_f32_e32 v23, 0xbe3c28d5, v22
	v_add_f32_e32 v36, v36, v37
	v_fma_f32 v37, v20, s80, -v23
	v_fmac_f32_e32 v23, 0xbf7ba420, v20
	v_add_f32_e32 v56, v56, v57
	v_add_f32_e32 v57, v23, v59
	v_mul_f32_e32 v23, 0x3f763a35, v22
	v_fma_f32 v59, v20, s38, -v23
	v_fmac_f32_e32 v23, 0xbe8c1d8e, v20
	v_add_f32_e32 v37, v37, v68
	v_add_f32_e32 v68, v23, v69
	v_mul_f32_e32 v23, 0x3eb8f4ab, v22
	v_add_f32_e32 v71, v71, v81
	v_fma_f32 v69, v20, s13, -v23
	v_fmac_f32_e32 v23, 0x3f6eb680, v20
	v_add_f32_e32 v59, v59, v70
	v_add_f32_e32 v70, v23, v71
	v_mul_f32_e32 v23, 0xbf65296c, v22
	v_add_f32_e32 v74, v74, v83
	;; [unrolled: 6-line block ×3, first 2 shown]
	v_add_f32_e32 v76, v76, v85
	v_fma_f32 v74, v20, s17, -v23
	v_fmac_f32_e32 v23, 0xbf59a7d5, v20
	v_add_f32_e32 v71, v71, v75
	v_add_f32_e32 v75, v23, v76
	v_mul_f32_e32 v23, 0x3f4c4adb, v22
	v_add_f32_e32 v77, v77, v84
	v_add_f32_e32 v78, v78, v87
	v_fma_f32 v76, v20, s26, -v23
	v_fmac_f32_e32 v23, 0xbf1a4643, v20
	v_mul_f32_e32 v22, 0x3f2c7751, v22
	v_add_f32_e32 v79, v79, v86
	v_add_f32_e32 v80, v80, v88
	;; [unrolled: 1-line block ×4, first 2 shown]
	v_fma_f32 v23, v20, s30, -v22
	v_fmac_f32_e32 v22, 0x3f3d2fb0, v20
	v_add_f32_e32 v76, v76, v79
	v_add_f32_e32 v78, v23, v80
	;; [unrolled: 1-line block ×3, first 2 shown]
	v_mov_b32_e32 v20, v35
	v_mov_b32_e32 v21, v34
	;; [unrolled: 1-line block ×7, first 2 shown]
	v_pk_mul_f32 v[10:11], v[34:35], v[8:9]
	v_pk_mul_f32 v[8:9], v[20:21], v[8:9]
	v_pk_fma_f32 v[10:11], v[20:21], v[22:23], v[10:11] neg_lo:[0,0,1] neg_hi:[0,0,1]
	v_pk_fma_f32 v[20:21], v[34:35], v[22:23], v[8:9]
	v_mov_b32_e32 v9, v14
	v_mov_b32_e32 v14, v13
	;; [unrolled: 1-line block ×3, first 2 shown]
	v_pk_mul_f32 v[22:23], v[62:63], v[14:15]
	v_mov_b32_e32 v66, v13
	v_pk_fma_f32 v[22:23], v[32:33], v[8:9], v[22:23] neg_lo:[0,0,1] neg_hi:[0,0,1]
	v_mov_b32_e32 v9, v63
	v_mov_b32_e32 v63, v33
	;; [unrolled: 1-line block ×4, first 2 shown]
	v_pk_mul_f32 v[12:13], v[62:63], v[12:13]
	s_mov_b32 s6, s27
	v_pk_fma_f32 v[8:9], v[8:9], v[66:67], v[12:13]
	v_add_f32_e32 v12, v58, v11
	v_pk_add_f32 v[14:15], v[20:21], v[8:9] neg_lo:[0,1] neg_hi:[0,1]
	s_mov_b32 s7, s39
	v_add_f32_e32 v58, v12, v10
	v_pk_add_f32 v[12:13], v[10:11], v[22:23]
	s_mov_b32 s4, s26
	s_mov_b32 s5, s38
	v_pk_mul_f32 v[32:33], v[14:15], s[6:7]
	v_mul_f32_e32 v63, 0xbe3c28d5, v15
	v_pk_fma_f32 v[34:35], v[12:13], s[4:5], v[32:33] neg_lo:[0,0,1] neg_hi:[0,0,1]
	v_pk_fma_f32 v[32:33], v[12:13], s[4:5], v[32:33]
	v_add_f32_e32 v35, v35, v56
	v_add_f32_e32 v33, v33, v36
	v_mul_f32_e32 v36, 0x3f06c442, v15
	v_fma_f32 v56, v13, s17, -v36
	v_add_f32_e32 v37, v56, v37
	v_fmac_f32_e32 v36, 0xbf59a7d5, v13
	v_mul_f32_e32 v56, 0x3f2c7751, v15
	v_add_f32_e32 v36, v36, v57
	v_fma_f32 v57, v13, s30, -v56
	v_add_f32_e32 v57, v57, v59
	v_mul_f32_e32 v59, 0xbf65296c, v15
	v_fma_f32 v62, v13, s34, -v59
	v_mul_f32_e32 v65, 0x3f7ee86f, v15
	v_mul_f32_e32 v67, 0xbeb8f4ab, v15
	;; [unrolled: 1-line block ×3, first 2 shown]
	v_fmac_f32_e32 v56, 0x3f3d2fb0, v13
	v_add_f32_e32 v62, v62, v69
	v_fma_f32 v69, v13, s26, -v15
	v_fmac_f32_e32 v15, 0xbf1a4643, v13
	v_add_f32_e32 v56, v56, v68
	v_fmac_f32_e32 v59, 0x3ee437d1, v13
	v_fma_f32 v64, v13, s80, -v63
	v_fmac_f32_e32 v63, 0xbf7ba420, v13
	v_fma_f32 v66, v13, s14, -v65
	;; [unrolled: 2-line block ×3, first 2 shown]
	v_fmac_f32_e32 v67, 0x3f6eb680, v13
	v_add_f32_e32 v13, v15, v79
	v_mul_f32_e32 v15, 0x3f763a35, v14
	v_add_f32_e32 v32, v32, v33
	v_fma_f32 v33, v12, s38, -v15
	v_fmac_f32_e32 v15, 0xbe8c1d8e, v12
	v_add_f32_e32 v34, v34, v35
	v_add_f32_e32 v35, v15, v36
	v_mul_f32_e32 v15, 0xbeb8f4ab, v14
	v_fma_f32 v36, v12, s13, -v15
	v_fmac_f32_e32 v15, 0x3f6eb680, v12
	v_add_f32_e32 v33, v33, v37
	v_add_f32_e32 v37, v15, v56
	v_mul_f32_e32 v15, 0xbf06c442, v14
	v_add_f32_e32 v59, v59, v70
	v_fma_f32 v56, v12, s17, -v15
	v_fmac_f32_e32 v15, 0xbf59a7d5, v12
	v_add_f32_e32 v36, v36, v57
	v_add_f32_e32 v57, v15, v59
	v_mul_f32_e32 v15, 0x3f7ee86f, v14
	v_add_f32_e32 v63, v63, v73
	;; [unrolled: 6-line block ×3, first 2 shown]
	v_add_f32_e32 v65, v65, v75
	v_fma_f32 v63, v12, s30, -v15
	v_fmac_f32_e32 v15, 0x3f3d2fb0, v12
	v_add_f32_e32 v59, v59, v64
	v_add_f32_e32 v64, v15, v65
	v_mul_f32_e32 v15, 0xbe3c28d5, v14
	v_add_f32_e32 v66, v66, v74
	v_add_f32_e32 v67, v67, v77
	v_fma_f32 v65, v12, s80, -v15
	v_fmac_f32_e32 v15, 0xbf7ba420, v12
	v_mul_f32_e32 v14, 0x3f65296c, v14
	v_add_f32_e32 v68, v68, v76
	v_add_f32_e32 v69, v69, v78
	;; [unrolled: 1-line block ×4, first 2 shown]
	v_fma_f32 v15, v12, s34, -v14
	v_fmac_f32_e32 v14, 0x3ee437d1, v12
	v_add_f32_e32 v65, v65, v68
	v_add_f32_e32 v67, v15, v69
	;; [unrolled: 1-line block ×3, first 2 shown]
	v_mov_b32_e32 v12, v31
	v_mov_b32_e32 v13, v30
	;; [unrolled: 1-line block ×7, first 2 shown]
	v_pk_mul_f32 v[2:3], v[30:31], v[0:1]
	v_pk_mul_f32 v[0:1], v[12:13], v[0:1]
	v_mov_b32_e32 v61, v6
	v_pk_fma_f32 v[2:3], v[12:13], v[14:15], v[2:3] neg_lo:[0,0,1] neg_hi:[0,0,1]
	v_pk_fma_f32 v[12:13], v[30:31], v[14:15], v[0:1]
	v_mov_b32_e32 v1, v6
	v_mov_b32_e32 v6, v5
	;; [unrolled: 1-line block ×3, first 2 shown]
	v_pk_mul_f32 v[14:15], v[52:53], v[6:7]
	v_mov_b32_e32 v60, v5
	v_pk_fma_f32 v[14:15], v[28:29], v[0:1], v[14:15] neg_lo:[0,0,1] neg_hi:[0,0,1]
	v_mov_b32_e32 v1, v53
	v_mov_b32_e32 v53, v29
	;; [unrolled: 1-line block ×4, first 2 shown]
	v_pk_mul_f32 v[4:5], v[52:53], v[4:5]
	v_pk_add_f32 v[6:7], v[2:3], v[14:15]
	v_pk_fma_f32 v[4:5], v[0:1], v[60:61], v[4:5]
	v_add_f32_e32 v0, v58, v3
	v_add_f32_e32 v0, v0, v2
	;; [unrolled: 1-line block ×9, first 2 shown]
	v_pk_add_f32 v[28:29], v[12:13], v[4:5] neg_lo:[0,1] neg_hi:[0,1]
	v_add_f32_e32 v52, v0, v49
	v_pk_mul_f32 v[0:1], v[28:29], s[2:3]
	s_mov_b64 s[2:3], s[18:19]
	v_pk_fma_f32 v[30:31], v[6:7], s[2:3], v[0:1] neg_lo:[0,0,1] neg_hi:[0,0,1]
	v_pk_fma_f32 v[0:1], v[6:7], s[2:3], v[0:1]
	v_add_f32_e32 v31, v31, v34
	v_add_f32_e32 v1, v1, v32
	v_mul_f32_e32 v32, 0x3f65296c, v29
	v_fma_f32 v34, v7, s34, -v32
	v_add_f32_e32 v33, v34, v33
	v_fmac_f32_e32 v32, 0x3ee437d1, v7
	v_mul_f32_e32 v34, 0xbf7ee86f, v29
	v_add_f32_e32 v32, v32, v35
	v_fma_f32 v35, v7, s14, -v34
	v_add_f32_e32 v35, v35, v36
	v_fmac_f32_e32 v34, 0x3dbcf732, v7
	v_mul_f32_e32 v36, 0x3f4c4adb, v29
	v_add_f32_e32 v34, v34, v37
	v_fma_f32 v37, v7, s26, -v36
	v_fmac_f32_e32 v36, 0xbf1a4643, v7
	v_mul_f32_e32 v53, 0xbeb8f4ab, v29
	v_add_f32_e32 v36, v36, v57
	v_fma_f32 v54, v7, s13, -v53
	v_mul_f32_e32 v55, 0xbe3c28d5, v29
	v_mul_f32_e32 v57, 0x3f2c7751, v29
	;; [unrolled: 1-line block ×3, first 2 shown]
	v_add_f32_e32 v54, v54, v59
	v_fma_f32 v59, v7, s38, -v29
	v_fmac_f32_e32 v29, 0xbe8c1d8e, v7
	v_add_f32_e32 v0, v0, v1
	v_mul_f32_e32 v1, 0x3eb8f4ab, v28
	v_add_f32_e32 v37, v37, v56
	v_fmac_f32_e32 v53, 0x3f6eb680, v7
	v_fma_f32 v56, v7, s80, -v55
	v_fmac_f32_e32 v55, 0xbf7ba420, v7
	v_fma_f32 v58, v7, s30, -v57
	v_fmac_f32_e32 v57, 0x3f3d2fb0, v7
	v_add_f32_e32 v7, v29, v68
	v_add_f32_e32 v29, v30, v31
	v_fma_f32 v30, v6, s13, -v1
	v_fmac_f32_e32 v1, 0x3f6eb680, v6
	v_mul_f32_e32 v31, 0xbf06c442, v28
	v_add_f32_e32 v30, v30, v33
	v_add_f32_e32 v1, v1, v32
	v_fma_f32 v32, v6, s17, -v31
	v_fmac_f32_e32 v31, 0xbf59a7d5, v6
	v_mul_f32_e32 v33, 0x3f2c7751, v28
	;; [unrolled: 5-line block ×3, first 2 shown]
	v_add_f32_e32 v53, v53, v62
	v_add_f32_e32 v34, v34, v37
	;; [unrolled: 1-line block ×3, first 2 shown]
	v_fma_f32 v36, v6, s26, -v35
	v_fmac_f32_e32 v35, 0xbf1a4643, v6
	v_mul_f32_e32 v37, 0x3f65296c, v28
	v_add_f32_e32 v56, v56, v63
	v_add_f32_e32 v36, v36, v54
	;; [unrolled: 1-line block ×3, first 2 shown]
	v_fma_f32 v53, v6, s34, -v37
	v_mul_f32_e32 v54, 0xbf763a35, v28
	v_mul_f32_e32 v28, 0x3f7ee86f, v28
	v_add_f32_e32 v55, v55, v64
	v_add_f32_e32 v53, v53, v56
	v_fmac_f32_e32 v37, 0x3ee437d1, v6
	v_fma_f32 v56, v6, s14, -v28
	v_fmac_f32_e32 v28, 0x3dbcf732, v6
	v_add_f32_e32 v37, v37, v55
	v_fma_f32 v55, v6, s38, -v54
	v_fmac_f32_e32 v54, 0xbe8c1d8e, v6
	v_add_f32_e32 v6, v28, v7
	v_cmp_lt_u32_e64 s[2:3], 16, v24
	v_mov_b32_e32 v7, 0x484
	v_add_f32_e32 v58, v58, v65
	v_cndmask_b32_e64 v7, 0, v7, s[2:3]
	v_add_f32_e32 v57, v57, v66
	v_add_f32_e32 v59, v59, v67
	v_add_u32_e32 v7, 0, v7
	v_lshlrev_b32_e32 v28, 2, v72
	v_add_f32_e32 v55, v55, v58
	v_add_f32_e32 v54, v54, v57
	;; [unrolled: 1-line block ×3, first 2 shown]
	v_add3_u32 v7, v7, v28, v25
	ds_write2_b32 v7, v52, v29 offset1:17
	ds_write2_b32 v7, v30, v32 offset0:34 offset1:51
	ds_write2_b32 v7, v34, v36 offset0:68 offset1:85
	;; [unrolled: 1-line block ×7, first 2 shown]
	ds_write_b32 v7, v0 offset:1088
	s_waitcnt lgkmcnt(0)
	s_barrier
	ds_read_b32 v30, v113
	ds_read2_b32 v[58:59], v115 offset0:110 offset1:161
	ds_read2_b32 v[32:33], v112 offset0:34 offset1:68
	;; [unrolled: 1-line block ×7, first 2 shown]
	ds_read_b32 v28, v112 offset:2108
                                        ; implicit-def: $vgpr6
	s_and_saveexec_b64 s[2:3], s[0:1]
	s_cbranch_execz .LBB0_12
; %bb.11:
	ds_read_b32 v0, v112 offset:1088
	ds_read_b32 v6, v112 offset:2244
.LBB0_12:
	s_or_b64 exec, exec, s[2:3]
	v_add_f32_e32 v1, v41, v47
	v_pk_add_f32 v[44:45], v[44:45], v[48:49] neg_lo:[0,1] neg_hi:[0,1]
	v_add_f32_e32 v1, v1, v46
	v_pk_add_f32 v[46:47], v[46:47], v[42:43]
	v_mul_f32_e32 v25, 0xbeb8f4ab, v45
	v_mul_f32_e32 v31, 0xbf2c7751, v45
	;; [unrolled: 1-line block ×8, first 2 shown]
	v_fmamk_f32 v29, v47, 0x3f6eb680, v25
	v_fma_f32 v25, v47, s13, -v25
	v_fmamk_f32 v48, v47, 0x3f3d2fb0, v31
	v_fma_f32 v31, v47, s30, -v31
	;; [unrolled: 2-line block ×8, first 2 shown]
	v_add_f32_e32 v29, v41, v29
	v_add_f32_e32 v25, v41, v25
	;; [unrolled: 1-line block ×16, first 2 shown]
	v_mul_f32_e32 v45, 0xbf2c7751, v44
	v_fmamk_f32 v47, v46, 0x3f3d2fb0, v45
	v_fma_f32 v45, v46, s30, -v45
	v_add_f32_e32 v25, v45, v25
	v_mul_f32_e32 v45, 0xbf7ee86f, v44
	v_add_f32_e32 v29, v47, v29
	v_fmamk_f32 v47, v46, 0x3dbcf732, v45
	v_fma_f32 v45, v46, s14, -v45
	v_add_f32_e32 v31, v45, v31
	v_mul_f32_e32 v45, 0xbf4c4adb, v44
	v_add_f32_e32 v47, v47, v48
	;; [unrolled: 5-line block ×6, first 2 shown]
	v_fmamk_f32 v66, v46, 0x3ee437d1, v65
	v_fma_f32 v65, v46, s34, -v65
	v_mul_f32_e32 v44, 0x3eb8f4ab, v44
	v_add_f32_e32 v65, v65, v67
	v_fmamk_f32 v67, v46, 0x3f6eb680, v44
	v_fma_f32 v44, v46, s13, -v44
	v_add_f32_e32 v1, v1, v39
	v_pk_add_f32 v[18:19], v[18:19], v[50:51] neg_lo:[0,1] neg_hi:[0,1]
	v_add_f32_e32 v41, v44, v41
	v_add_f32_e32 v1, v1, v38
	v_pk_add_f32 v[38:39], v[38:39], v[16:17]
	v_mul_f32_e32 v44, 0xbf65296c, v19
	v_fmamk_f32 v46, v39, 0x3ee437d1, v44
	v_fma_f32 v44, v39, s34, -v44
	v_add_f32_e32 v25, v44, v25
	v_mul_f32_e32 v44, 0xbf4c4adb, v19
	v_add_f32_e32 v29, v46, v29
	v_fmamk_f32 v46, v39, 0xbf1a4643, v44
	v_fma_f32 v44, v39, s26, -v44
	v_add_f32_e32 v31, v44, v31
	v_mul_f32_e32 v44, 0x3e3c28d5, v19
	v_add_f32_e32 v46, v46, v47
	;; [unrolled: 5-line block ×3, first 2 shown]
	v_fmamk_f32 v48, v39, 0xbe8c1d8e, v45
	v_fma_f32 v45, v39, s38, -v45
	v_add_f32_e32 v45, v45, v49
	v_mul_f32_e32 v49, 0x3f2c7751, v19
	v_fmamk_f32 v50, v39, 0x3f3d2fb0, v49
	v_fma_f32 v49, v39, s30, -v49
	v_mul_f32_e32 v51, 0xbeb8f4ab, v19
	v_add_f32_e32 v48, v48, v60
	v_add_f32_e32 v49, v49, v61
	v_fmamk_f32 v60, v39, 0x3f6eb680, v51
	v_fma_f32 v51, v39, s13, -v51
	v_mul_f32_e32 v61, 0xbf7ee86f, v19
	v_mul_f32_e32 v19, 0xbf06c442, v19
	v_add_f32_e32 v50, v50, v62
	v_add_f32_e32 v51, v51, v63
	v_fmamk_f32 v62, v39, 0x3dbcf732, v61
	v_fma_f32 v61, v39, s14, -v61
	v_fmamk_f32 v63, v39, 0xbf59a7d5, v19
	v_fma_f32 v19, v39, s17, -v19
	v_mul_f32_e32 v39, 0xbf7ee86f, v18
	v_add_f32_e32 v19, v19, v41
	v_fmamk_f32 v41, v38, 0x3dbcf732, v39
	v_fma_f32 v39, v38, s14, -v39
	v_add_f32_e32 v25, v39, v25
	v_mul_f32_e32 v39, 0xbe3c28d5, v18
	v_add_f32_e32 v29, v41, v29
	v_fmamk_f32 v41, v38, 0xbf7ba420, v39
	v_fma_f32 v39, v38, s80, -v39
	v_add_f32_e32 v31, v39, v31
	;; [unrolled: 5-line block ×6, first 2 shown]
	v_add_f32_e32 v49, v49, v51
	v_mul_f32_e32 v51, 0x3f4c4adb, v18
	v_add_f32_e32 v61, v61, v65
	v_add_f32_e32 v50, v50, v60
	v_fmamk_f32 v60, v38, 0xbf1a4643, v51
	v_fma_f32 v51, v38, s26, -v51
	v_mul_f32_e32 v18, 0x3f2c7751, v18
	v_add_f32_e32 v51, v51, v61
	v_fmamk_f32 v61, v38, 0x3f3d2fb0, v18
	v_fma_f32 v18, v38, s30, -v18
	v_add_f32_e32 v1, v1, v21
	v_pk_add_f32 v[10:11], v[10:11], v[22:23] neg_lo:[0,1] neg_hi:[0,1]
	v_add_f32_e32 v38, v18, v19
	v_add_f32_e32 v1, v1, v20
	v_pk_add_f32 v[18:19], v[20:21], v[8:9]
	v_mul_f32_e32 v20, 0xbf763a35, v11
	v_fmamk_f32 v21, v19, 0xbe8c1d8e, v20
	v_fma_f32 v20, v19, s38, -v20
	v_mul_f32_e32 v22, 0x3f06c442, v11
	v_add_f32_e32 v20, v20, v25
	v_fmamk_f32 v23, v19, 0xbf59a7d5, v22
	v_fma_f32 v22, v19, s17, -v22
	v_mul_f32_e32 v25, 0x3f2c7751, v11
	v_add_f32_e32 v21, v21, v29
	v_add_f32_e32 v22, v22, v31
	v_fmamk_f32 v29, v19, 0x3f3d2fb0, v25
	v_fma_f32 v25, v19, s30, -v25
	v_mul_f32_e32 v31, 0xbf65296c, v11
	v_add_f32_e32 v23, v23, v41
	;; [unrolled: 5-line block ×3, first 2 shown]
	v_fmamk_f32 v44, v19, 0xbf7ba420, v41
	v_fma_f32 v41, v19, s80, -v41
	v_add_f32_e32 v41, v41, v45
	v_mul_f32_e32 v45, 0x3f7ee86f, v11
	v_add_f32_e32 v29, v29, v46
	v_add_f32_e32 v39, v39, v47
	v_fmamk_f32 v46, v19, 0x3dbcf732, v45
	v_fma_f32 v45, v19, s14, -v45
	v_mul_f32_e32 v47, 0xbeb8f4ab, v11
	v_mul_f32_e32 v11, 0xbf4c4adb, v11
	v_add_f32_e32 v44, v44, v48
	v_add_f32_e32 v45, v45, v49
	v_fmamk_f32 v48, v19, 0x3f6eb680, v47
	v_fma_f32 v47, v19, s13, -v47
	v_fmamk_f32 v49, v19, 0xbf1a4643, v11
	v_fma_f32 v11, v19, s26, -v11
	v_mul_f32_e32 v19, 0xbf4c4adb, v10
	v_add_f32_e32 v11, v11, v38
	v_fmamk_f32 v38, v18, 0xbf1a4643, v19
	v_fma_f32 v19, v18, s26, -v19
	v_add_f32_e32 v19, v19, v20
	v_mul_f32_e32 v20, 0x3f763a35, v10
	v_add_f32_e32 v21, v38, v21
	v_fmamk_f32 v38, v18, 0xbe8c1d8e, v20
	v_fma_f32 v20, v18, s38, -v20
	v_add_f32_e32 v20, v20, v22
	;; [unrolled: 5-line block ×3, first 2 shown]
	v_add_f32_e32 v22, v22, v25
	v_mul_f32_e32 v25, 0xbf06c442, v10
	v_add_f32_e32 v1, v1, v12
	v_add_f32_e32 v29, v38, v29
	v_fmamk_f32 v38, v18, 0xbf59a7d5, v25
	v_fma_f32 v25, v18, s17, -v25
	v_add_f32_e32 v1, v1, v4
	v_add_f32_e32 v25, v25, v31
	v_mul_f32_e32 v31, 0x3f7ee86f, v10
	v_add_f32_e32 v1, v1, v5
	v_add_f32_e32 v38, v38, v39
	v_fmamk_f32 v39, v18, 0x3dbcf732, v31
	v_fma_f32 v31, v18, s14, -v31
	v_add_f32_e32 v1, v1, v8
	;; [unrolled: 7-line block ×3, first 2 shown]
	v_add_f32_e32 v46, v46, v50
	v_add_f32_e32 v41, v41, v45
	v_mul_f32_e32 v45, 0xbe3c28d5, v10
	v_add_f32_e32 v1, v1, v17
	v_add_f32_e32 v47, v47, v51
	;; [unrolled: 1-line block ×3, first 2 shown]
	v_fmamk_f32 v46, v18, 0xbf7ba420, v45
	v_fma_f32 v45, v18, s80, -v45
	v_mul_f32_e32 v10, 0x3f65296c, v10
	v_add_f32_e32 v1, v1, v42
	v_pk_add_f32 v[2:3], v[2:3], v[14:15] neg_lo:[0,1] neg_hi:[0,1]
	v_add_f32_e32 v45, v45, v47
	v_fmamk_f32 v47, v18, 0x3ee437d1, v10
	v_fma_f32 v10, v18, s34, -v10
	v_add_f32_e32 v8, v1, v43
	v_pk_add_f32 v[4:5], v[12:13], v[4:5]
	v_mul_f32_e32 v1, 0xbf06c442, v3
	v_add_f32_e32 v10, v10, v11
	v_fmamk_f32 v9, v5, 0xbf59a7d5, v1
	v_fma_f32 v1, v5, s17, -v1
	v_mul_f32_e32 v11, 0x3f65296c, v3
	v_mul_f32_e32 v13, 0xbf7ee86f, v3
	v_add_f32_e32 v9, v9, v21
	v_add_f32_e32 v1, v1, v19
	v_fmamk_f32 v12, v5, 0x3ee437d1, v11
	v_fma_f32 v11, v5, s34, -v11
	v_fmamk_f32 v14, v5, 0x3dbcf732, v13
	v_fma_f32 v13, v5, s14, -v13
	v_mul_f32_e32 v15, 0x3f4c4adb, v3
	v_mul_f32_e32 v17, 0xbeb8f4ab, v3
	;; [unrolled: 1-line block ×5, first 2 shown]
	v_add_f32_e32 v12, v12, v23
	v_add_f32_e32 v11, v11, v20
	;; [unrolled: 1-line block ×3, first 2 shown]
	v_fmamk_f32 v16, v5, 0xbf1a4643, v15
	v_fma_f32 v15, v5, s26, -v15
	v_fmamk_f32 v18, v5, 0x3f6eb680, v17
	v_fma_f32 v17, v5, s13, -v17
	;; [unrolled: 2-line block ×5, first 2 shown]
	v_mul_f32_e32 v5, 0xbe3c28d5, v2
	v_add_f32_e32 v3, v3, v10
	v_fmamk_f32 v10, v4, 0xbf7ba420, v5
	v_fma_f32 v5, v4, s80, -v5
	v_add_f32_e32 v1, v5, v1
	v_mul_f32_e32 v5, 0x3eb8f4ab, v2
	v_add_f32_e32 v9, v10, v9
	v_fmamk_f32 v10, v4, 0x3f6eb680, v5
	v_fma_f32 v5, v4, s13, -v5
	v_add_f32_e32 v5, v5, v11
	v_mul_f32_e32 v11, 0xbf06c442, v2
	v_add_f32_e32 v10, v10, v12
	v_fmamk_f32 v12, v4, 0xbf59a7d5, v11
	v_fma_f32 v11, v4, s17, -v11
	v_add_f32_e32 v14, v14, v29
	v_add_f32_e32 v11, v11, v13
	v_mul_f32_e32 v13, 0x3f2c7751, v2
	v_add_f32_e32 v15, v15, v25
	v_add_f32_e32 v12, v12, v14
	v_fmamk_f32 v14, v4, 0x3f3d2fb0, v13
	v_fma_f32 v13, v4, s30, -v13
	v_add_f32_e32 v16, v16, v38
	v_add_f32_e32 v13, v13, v15
	v_mul_f32_e32 v15, 0xbf4c4adb, v2
	v_add_f32_e32 v66, v66, v68
	v_add_f32_e32 v67, v67, v69
	;; [unrolled: 1-line block ×4, first 2 shown]
	v_fmamk_f32 v16, v4, 0xbf1a4643, v15
	v_fma_f32 v15, v4, s26, -v15
	v_add_f32_e32 v62, v62, v66
	v_add_f32_e32 v63, v63, v67
	;; [unrolled: 1-line block ×4, first 2 shown]
	v_mul_f32_e32 v17, 0x3f65296c, v2
	v_add_f32_e32 v60, v60, v62
	v_add_f32_e32 v61, v61, v63
	v_add_f32_e32 v19, v19, v41
	v_add_f32_e32 v16, v16, v18
	v_fmamk_f32 v18, v4, 0x3ee437d1, v17
	v_fma_f32 v17, v4, s34, -v17
	v_add_f32_e32 v48, v48, v60
	v_add_f32_e32 v49, v49, v61
	;; [unrolled: 1-line block ×4, first 2 shown]
	v_mul_f32_e32 v19, 0xbf763a35, v2
	v_add_f32_e32 v46, v46, v48
	v_add_f32_e32 v47, v47, v49
	;; [unrolled: 1-line block ×4, first 2 shown]
	v_fmamk_f32 v20, v4, 0xbe8c1d8e, v19
	v_fma_f32 v19, v4, s38, -v19
	v_mul_f32_e32 v2, 0x3f7ee86f, v2
	v_add_f32_e32 v22, v22, v46
	v_add_f32_e32 v23, v23, v47
	;; [unrolled: 1-line block ×3, first 2 shown]
	v_fmamk_f32 v21, v4, 0x3dbcf732, v2
	v_add_f32_e32 v20, v20, v22
	v_add_f32_e32 v21, v21, v23
	v_fma_f32 v2, v4, s14, -v2
	v_add_f32_e32 v2, v2, v3
	s_waitcnt lgkmcnt(0)
	s_barrier
	ds_write2_b32 v7, v8, v9 offset1:17
	ds_write2_b32 v7, v10, v12 offset0:34 offset1:51
	ds_write2_b32 v7, v14, v16 offset0:68 offset1:85
	;; [unrolled: 1-line block ×7, first 2 shown]
	ds_write_b32 v7, v1 offset:1088
	s_waitcnt lgkmcnt(0)
	s_barrier
	ds_read2_b32 v[14:15], v115 offset0:110 offset1:161
	ds_read2_b32 v[16:17], v112 offset0:34 offset1:68
	;; [unrolled: 1-line block ×7, first 2 shown]
	ds_read_b32 v31, v113
	ds_read_b32 v4, v112 offset:2108
                                        ; implicit-def: $vgpr2
	s_and_saveexec_b64 s[2:3], s[0:1]
	s_cbranch_execz .LBB0_14
; %bb.13:
	ds_read_b32 v1, v112 offset:1088
	ds_read_b32 v2, v112 offset:2244
	v_add_u32_e32 v40, 0x110, v24
.LBB0_14:
	s_or_b64 exec, exec, s[2:3]
	s_and_saveexec_b64 s[2:3], vcc
	s_cbranch_execz .LBB0_17
; %bb.15:
	v_mov_b32_e32 v25, 0
	v_lshlrev_b64 v[22:23], 3, v[24:25]
	v_lshl_add_u64 v[38:39], s[8:9], 0, v[22:23]
	global_load_dwordx2 v[42:43], v[38:39], off offset:2176
	global_load_dwordx2 v[44:45], v[38:39], off offset:2448
	global_load_dwordx2 v[46:47], v[38:39], off offset:2720
	global_load_dwordx2 v[48:49], v[38:39], off offset:2992
	global_load_dwordx2 v[50:51], v[38:39], off offset:3264
	global_load_dwordx2 v[60:61], v[38:39], off offset:3536
	global_load_dwordx2 v[64:65], v[38:39], off offset:3808
	s_waitcnt lgkmcnt(8)
	v_mov_b32_e32 v68, v15
	global_load_dwordx2 v[38:39], v[38:39], off offset:4080
	v_mov_b32_e32 v62, v58
	v_mov_b32_e32 v63, v14
	;; [unrolled: 1-line block ×3, first 2 shown]
	s_waitcnt lgkmcnt(3)
	v_mov_b32_e32 v37, v20
	v_mov_b32_e32 v20, v35
	;; [unrolled: 1-line block ×9, first 2 shown]
	v_lshl_add_u64 v[14:15], v[26:27], 0, v[22:23]
	v_mov_b32_e32 v67, v21
	v_mov_b32_e32 v21, v19
	;; [unrolled: 1-line block ×7, first 2 shown]
	v_add_u32_e32 v3, 0xcc, v24
	s_mov_b32 s2, 0xe2c4a689
	v_mov_b32_e32 v82, v57
	v_mov_b32_e32 v84, v57
	v_mul_hi_u32 v3, v3, s2
	v_lshrrev_b32_e32 v3, 8, v3
	v_mul_u32_u24_e32 v86, 0x121, v3
	v_add_u32_e32 v3, 0xee, v24
	v_mul_hi_u32 v3, v3, s2
	v_mov_b32_e32 v87, v25
	v_lshrrev_b32_e32 v3, 8, v3
	v_lshl_add_u64 v[22:23], v[86:87], 3, v[14:15]
	v_mul_u32_u24_e32 v24, 0x121, v3
	s_mov_b64 s[2:3], 0x770
	s_waitcnt vmcnt(7)
	v_pk_mul_f32 v[26:27], v[68:69], v[42:43] op_sel:[0,1] op_sel_hi:[0,0]
	s_waitcnt vmcnt(6)
	v_pk_mul_f32 v[10:11], v[10:11], v[44:45] op_sel:[0,1] op_sel_hi:[0,0]
	;; [unrolled: 2-line block ×5, first 2 shown]
	s_waitcnt vmcnt(2) lgkmcnt(2)
	v_pk_mul_f32 v[80:81], v[8:9], v[60:61] op_sel:[0,1] op_sel_hi:[0,0]
	v_pk_fma_f32 v[16:17], v[16:17], v[42:43], v[26:27] neg_lo:[0,0,1] neg_hi:[0,0,1]
	v_pk_fma_f32 v[26:27], v[58:59], v[42:43], v[26:27] op_sel_hi:[0,1,1]
	v_pk_fma_f32 v[42:43], v[52:53], v[44:45], v[10:11] neg_lo:[0,0,1] neg_hi:[0,0,1]
	v_pk_fma_f32 v[10:11], v[52:53], v[44:45], v[10:11] op_sel_hi:[0,1,1]
	;; [unrolled: 2-line block ×6, first 2 shown]
	v_mov_b32_e32 v17, v27
	v_mov_b32_e32 v43, v11
	;; [unrolled: 1-line block ×6, first 2 shown]
	s_waitcnt lgkmcnt(1)
	v_pk_add_f32 v[10:11], v[30:31], v[16:17] neg_lo:[0,1] neg_hi:[0,1]
	v_pk_add_f32 v[12:13], v[32:33], v[42:43] neg_lo:[0,1] neg_hi:[0,1]
	v_mov_b32_e32 v8, v9
	v_pk_add_f32 v[16:17], v[18:19], v[44:45] neg_lo:[0,1] neg_hi:[0,1]
	v_pk_add_f32 v[26:27], v[34:35], v[52:53] neg_lo:[0,1] neg_hi:[0,1]
	;; [unrolled: 1-line block ×4, first 2 shown]
	v_pk_fma_f32 v[30:31], v[30:31], 2.0, v[10:11] op_sel_hi:[1,0,1] neg_lo:[0,0,1] neg_hi:[0,0,1]
	global_store_dwordx2 v[14:15], v[10:11], off offset:2312
	v_pk_fma_f32 v[10:11], v[32:33], 2.0, v[12:13] op_sel_hi:[1,0,1] neg_lo:[0,0,1] neg_hi:[0,0,1]
	s_waitcnt vmcnt(2)
	v_pk_mul_f32 v[8:9], v[8:9], v[64:65] op_sel:[0,1] op_sel_hi:[0,0]
	global_store_dwordx2 v[14:15], v[12:13], off offset:2584
	v_pk_fma_f32 v[12:13], v[18:19], 2.0, v[16:17] op_sel_hi:[1,0,1] neg_lo:[0,0,1] neg_hi:[0,0,1]
	global_store_dwordx2 v[14:15], v[16:17], off offset:2856
	v_pk_fma_f32 v[16:17], v[34:35], 2.0, v[26:27] op_sel_hi:[1,0,1] neg_lo:[0,0,1] neg_hi:[0,0,1]
	;; [unrolled: 2-line block ×4, first 2 shown]
	global_store_dwordx2 v[14:15], v[44:45], off offset:3672
	global_store_dwordx2 v[14:15], v[30:31], off
	global_store_dwordx2 v[14:15], v[10:11], off offset:272
	global_store_dwordx2 v[14:15], v[12:13], off offset:544
	;; [unrolled: 1-line block ×5, first 2 shown]
	v_pk_fma_f32 v[10:11], v[82:83], v[64:65], v[8:9] neg_lo:[0,0,1] neg_hi:[0,0,1]
	v_pk_fma_f32 v[8:9], v[84:85], v[64:65], v[8:9] op_sel_hi:[0,1,1]
	s_waitcnt vmcnt(12) lgkmcnt(0)
	v_pk_mul_f32 v[4:5], v[4:5], v[38:39] op_sel:[0,1] op_sel_hi:[0,0]
	v_mov_b32_e32 v11, v9
	v_pk_fma_f32 v[12:13], v[28:29], v[38:39], v[4:5] neg_lo:[0,0,1] neg_hi:[0,0,1]
	v_pk_fma_f32 v[4:5], v[28:29], v[38:39], v[4:5] op_sel_hi:[0,1,1]
	v_pk_add_f32 v[8:9], v[66:67], v[10:11] neg_lo:[0,1] neg_hi:[0,1]
	v_mov_b32_e32 v13, v5
	v_pk_fma_f32 v[10:11], v[66:67], 2.0, v[8:9] op_sel_hi:[1,0,1] neg_lo:[0,0,1] neg_hi:[0,0,1]
	v_pk_add_f32 v[4:5], v[62:63], v[12:13] neg_lo:[0,1] neg_hi:[0,1]
	global_store_dwordx2 v[22:23], v[10:11], off offset:1632
	global_store_dwordx2 v[22:23], v[8:9], off offset:3944
	v_lshl_add_u64 v[8:9], v[24:25], 3, v[14:15]
	v_pk_fma_f32 v[12:13], v[62:63], 2.0, v[4:5] op_sel_hi:[1,0,1] neg_lo:[0,0,1] neg_hi:[0,0,1]
	v_lshl_add_u64 v[10:11], v[8:9], 0, s[2:3]
	global_store_dwordx2 v[8:9], v[12:13], off offset:1904
	global_store_dwordx2 v[10:11], v[4:5], off offset:2312
	s_and_b64 exec, exec, s[0:1]
	s_cbranch_execz .LBB0_17
; %bb.16:
	v_mov_b32_e32 v41, v25
	v_lshl_add_u64 v[4:5], v[40:41], 3, s[8:9]
	global_load_dwordx2 v[4:5], v[4:5], off offset:2176
	v_add_co_u32_e32 v8, vcc, 0x1000, v14
	s_waitcnt vmcnt(0)
	v_pk_mul_f32 v[2:3], v[2:3], v[4:5] op_sel_hi:[0,1]
	v_pk_fma_f32 v[10:11], v[6:7], v[4:5], v[2:3] op_sel:[0,0,1] op_sel_hi:[1,1,0] neg_lo:[0,0,1] neg_hi:[0,0,1]
	v_pk_fma_f32 v[2:3], v[6:7], v[4:5], v[2:3] op_sel:[0,0,1] op_sel_hi:[0,1,0]
	v_mov_b32_e32 v11, v3
	v_pk_add_f32 v[2:3], v[0:1], v[10:11] neg_lo:[0,1] neg_hi:[0,1]
	v_addc_co_u32_e32 v9, vcc, 0, v15, vcc
	v_pk_fma_f32 v[0:1], v[0:1], 2.0, v[2:3] op_sel_hi:[1,0,1] neg_lo:[0,0,1] neg_hi:[0,0,1]
	global_store_dwordx2 v[14:15], v[0:1], off offset:2176
	global_store_dwordx2 v[8:9], v[2:3], off offset:392
.LBB0_17:
	s_endpgm
	.section	.rodata,"a",@progbits
	.p2align	6, 0x0
	.amdhsa_kernel fft_rtc_fwd_len578_factors_17_17_2_wgs_238_tpt_34_halfLds_sp_ip_CI_unitstride_sbrr_dirReg
		.amdhsa_group_segment_fixed_size 0
		.amdhsa_private_segment_fixed_size 0
		.amdhsa_kernarg_size 88
		.amdhsa_user_sgpr_count 2
		.amdhsa_user_sgpr_dispatch_ptr 0
		.amdhsa_user_sgpr_queue_ptr 0
		.amdhsa_user_sgpr_kernarg_segment_ptr 1
		.amdhsa_user_sgpr_dispatch_id 0
		.amdhsa_user_sgpr_kernarg_preload_length 0
		.amdhsa_user_sgpr_kernarg_preload_offset 0
		.amdhsa_user_sgpr_private_segment_size 0
		.amdhsa_uses_dynamic_stack 0
		.amdhsa_enable_private_segment 0
		.amdhsa_system_sgpr_workgroup_id_x 1
		.amdhsa_system_sgpr_workgroup_id_y 0
		.amdhsa_system_sgpr_workgroup_id_z 0
		.amdhsa_system_sgpr_workgroup_info 0
		.amdhsa_system_vgpr_workitem_id 0
		.amdhsa_next_free_vgpr 185
		.amdhsa_next_free_sgpr 100
		.amdhsa_accum_offset 188
		.amdhsa_reserve_vcc 1
		.amdhsa_float_round_mode_32 0
		.amdhsa_float_round_mode_16_64 0
		.amdhsa_float_denorm_mode_32 3
		.amdhsa_float_denorm_mode_16_64 3
		.amdhsa_dx10_clamp 1
		.amdhsa_ieee_mode 1
		.amdhsa_fp16_overflow 0
		.amdhsa_tg_split 0
		.amdhsa_exception_fp_ieee_invalid_op 0
		.amdhsa_exception_fp_denorm_src 0
		.amdhsa_exception_fp_ieee_div_zero 0
		.amdhsa_exception_fp_ieee_overflow 0
		.amdhsa_exception_fp_ieee_underflow 0
		.amdhsa_exception_fp_ieee_inexact 0
		.amdhsa_exception_int_div_zero 0
	.end_amdhsa_kernel
	.text
.Lfunc_end0:
	.size	fft_rtc_fwd_len578_factors_17_17_2_wgs_238_tpt_34_halfLds_sp_ip_CI_unitstride_sbrr_dirReg, .Lfunc_end0-fft_rtc_fwd_len578_factors_17_17_2_wgs_238_tpt_34_halfLds_sp_ip_CI_unitstride_sbrr_dirReg
                                        ; -- End function
	.section	.AMDGPU.csdata,"",@progbits
; Kernel info:
; codeLenInByte = 12528
; NumSgprs: 106
; NumVgprs: 185
; NumAgprs: 0
; TotalNumVgprs: 185
; ScratchSize: 0
; MemoryBound: 0
; FloatMode: 240
; IeeeMode: 1
; LDSByteSize: 0 bytes/workgroup (compile time only)
; SGPRBlocks: 13
; VGPRBlocks: 23
; NumSGPRsForWavesPerEU: 106
; NumVGPRsForWavesPerEU: 185
; AccumOffset: 188
; Occupancy: 2
; WaveLimiterHint : 1
; COMPUTE_PGM_RSRC2:SCRATCH_EN: 0
; COMPUTE_PGM_RSRC2:USER_SGPR: 2
; COMPUTE_PGM_RSRC2:TRAP_HANDLER: 0
; COMPUTE_PGM_RSRC2:TGID_X_EN: 1
; COMPUTE_PGM_RSRC2:TGID_Y_EN: 0
; COMPUTE_PGM_RSRC2:TGID_Z_EN: 0
; COMPUTE_PGM_RSRC2:TIDIG_COMP_CNT: 0
; COMPUTE_PGM_RSRC3_GFX90A:ACCUM_OFFSET: 46
; COMPUTE_PGM_RSRC3_GFX90A:TG_SPLIT: 0
	.text
	.p2alignl 6, 3212836864
	.fill 256, 4, 3212836864
	.type	__hip_cuid_d364b7c0d770ea45,@object ; @__hip_cuid_d364b7c0d770ea45
	.section	.bss,"aw",@nobits
	.globl	__hip_cuid_d364b7c0d770ea45
__hip_cuid_d364b7c0d770ea45:
	.byte	0                               ; 0x0
	.size	__hip_cuid_d364b7c0d770ea45, 1

	.ident	"AMD clang version 19.0.0git (https://github.com/RadeonOpenCompute/llvm-project roc-6.4.0 25133 c7fe45cf4b819c5991fe208aaa96edf142730f1d)"
	.section	".note.GNU-stack","",@progbits
	.addrsig
	.addrsig_sym __hip_cuid_d364b7c0d770ea45
	.amdgpu_metadata
---
amdhsa.kernels:
  - .agpr_count:     0
    .args:
      - .actual_access:  read_only
        .address_space:  global
        .offset:         0
        .size:           8
        .value_kind:     global_buffer
      - .offset:         8
        .size:           8
        .value_kind:     by_value
      - .actual_access:  read_only
        .address_space:  global
        .offset:         16
        .size:           8
        .value_kind:     global_buffer
      - .actual_access:  read_only
        .address_space:  global
        .offset:         24
        .size:           8
        .value_kind:     global_buffer
      - .offset:         32
        .size:           8
        .value_kind:     by_value
      - .actual_access:  read_only
        .address_space:  global
        .offset:         40
        .size:           8
        .value_kind:     global_buffer
      - .actual_access:  read_only
        .address_space:  global
        .offset:         48
        .size:           8
        .value_kind:     global_buffer
      - .offset:         56
        .size:           4
        .value_kind:     by_value
      - .actual_access:  read_only
        .address_space:  global
        .offset:         64
        .size:           8
        .value_kind:     global_buffer
      - .actual_access:  read_only
        .address_space:  global
        .offset:         72
        .size:           8
        .value_kind:     global_buffer
      - .address_space:  global
        .offset:         80
        .size:           8
        .value_kind:     global_buffer
    .group_segment_fixed_size: 0
    .kernarg_segment_align: 8
    .kernarg_segment_size: 88
    .language:       OpenCL C
    .language_version:
      - 2
      - 0
    .max_flat_workgroup_size: 238
    .name:           fft_rtc_fwd_len578_factors_17_17_2_wgs_238_tpt_34_halfLds_sp_ip_CI_unitstride_sbrr_dirReg
    .private_segment_fixed_size: 0
    .sgpr_count:     106
    .sgpr_spill_count: 18
    .symbol:         fft_rtc_fwd_len578_factors_17_17_2_wgs_238_tpt_34_halfLds_sp_ip_CI_unitstride_sbrr_dirReg.kd
    .uniform_work_group_size: 1
    .uses_dynamic_stack: false
    .vgpr_count:     185
    .vgpr_spill_count: 0
    .wavefront_size: 64
amdhsa.target:   amdgcn-amd-amdhsa--gfx950
amdhsa.version:
  - 1
  - 2
...

	.end_amdgpu_metadata
